;; amdgpu-corpus repo=ROCm/rocFFT kind=compiled arch=gfx1100 opt=O3
	.text
	.amdgcn_target "amdgcn-amd-amdhsa--gfx1100"
	.amdhsa_code_object_version 6
	.protected	bluestein_single_back_len2197_dim1_dp_op_CI_CI ; -- Begin function bluestein_single_back_len2197_dim1_dp_op_CI_CI
	.globl	bluestein_single_back_len2197_dim1_dp_op_CI_CI
	.p2align	8
	.type	bluestein_single_back_len2197_dim1_dp_op_CI_CI,@function
bluestein_single_back_len2197_dim1_dp_op_CI_CI: ; @bluestein_single_back_len2197_dim1_dp_op_CI_CI
; %bb.0:
	s_load_b128 s[16:19], s[0:1], 0x28
	v_mul_u32_u24_e32 v1, 0x184, v0
	s_mov_b32 s2, exec_lo
	v_mov_b32_e32 v3, 0
	s_delay_alu instid0(VALU_DEP_2) | instskip(NEXT) | instid1(VALU_DEP_1)
	v_lshrrev_b32_e32 v1, 16, v1
	v_add_nc_u32_e32 v2, s15, v1
	s_waitcnt lgkmcnt(0)
	s_delay_alu instid0(VALU_DEP_1)
	v_cmpx_gt_u64_e64 s[16:17], v[2:3]
	s_cbranch_execz .LBB0_2
; %bb.1:
	s_clause 0x1
	s_load_b128 s[4:7], s[0:1], 0x18
	s_load_b128 s[8:11], s[0:1], 0x0
	v_mul_lo_u16 v1, 0xa9, v1
	s_mov_b32 s26, 0x4267c47c
	s_mov_b32 s24, 0x42a4c3d2
	;; [unrolled: 1-line block ×4, first 2 shown]
	v_sub_nc_u16 v24, v0, v1
	s_mov_b32 s25, 0xbfea55e2
	s_mov_b32 s31, 0xbfcea1e5
	;; [unrolled: 1-line block ×3, first 2 shown]
	s_delay_alu instid0(VALU_DEP_1)
	v_dual_mov_b32 v6, v2 :: v_dual_and_b32 v7, 0xffff, v24
	s_mov_b32 s16, 0xb2365da1
	s_mov_b32 s22, 0xd0032e0c
	;; [unrolled: 1-line block ×4, first 2 shown]
	v_mov_b32_e32 v33, v7
	scratch_store_b64 off, v[6:7], off      ; 8-byte Folded Spill
	v_lshlrev_b32_e32 v47, 4, v7
	s_waitcnt lgkmcnt(0)
	s_load_b128 s[12:15], s[4:5], 0x0
	s_mov_b32 s17, 0xbfd6b1d8
	scratch_store_b32 off, v33, off offset:216 ; 4-byte Folded Spill
	s_mov_b32 s23, 0xbfe7f3cc
	s_mov_b32 s29, 0xbfef11f4
	;; [unrolled: 1-line block ×11, first 2 shown]
	s_load_b64 s[0:1], s[0:1], 0x38
	s_waitcnt lgkmcnt(0)
	v_mad_u64_u32 v[0:1], null, s14, v2, 0
	v_mad_u64_u32 v[2:3], null, s12, v7, 0
	s_mul_i32 s2, s13, 0xa90
	s_mul_hi_u32 s4, s12, 0xa90
	s_mul_i32 s3, s12, 0xa90
	s_add_i32 s2, s4, s2
	v_add_co_u32 v255, s4, s8, v47
	s_delay_alu instid0(VALU_DEP_2) | instskip(SKIP_4) | instid1(VALU_DEP_2)
	v_mad_u64_u32 v[4:5], null, s15, v6, v[1:2]
	v_add_co_ci_u32_e64 v180, null, s9, 0, s4
	s_mov_b32 s14, 0x66966769
	s_mov_b32 s15, 0xbfefc445
	;; [unrolled: 1-line block ×3, first 2 shown]
	v_mad_u64_u32 v[5:6], null, s13, v7, v[3:4]
	v_mov_b32_e32 v1, v4
	s_mov_b32 s12, 0x24c2f84
	s_mov_b32 s13, 0xbfe5384d
	;; [unrolled: 1-line block ×3, first 2 shown]
	s_delay_alu instid0(VALU_DEP_1) | instskip(NEXT) | instid1(VALU_DEP_3)
	v_lshlrev_b64 v[0:1], 4, v[0:1]
	v_mov_b32_e32 v3, v5
	s_delay_alu instid0(VALU_DEP_2) | instskip(NEXT) | instid1(VALU_DEP_2)
	v_add_co_u32 v0, vcc_lo, s18, v0
	v_lshlrev_b64 v[2:3], 4, v[2:3]
	s_delay_alu instid0(VALU_DEP_4) | instskip(SKIP_2) | instid1(VALU_DEP_2)
	v_add_co_ci_u32_e32 v1, vcc_lo, s19, v1, vcc_lo
	s_mov_b32 s18, 0x1ea71119
	s_mov_b32 s19, 0x3fe22d96
	v_add_co_u32 v4, vcc_lo, v0, v2
	s_delay_alu instid0(VALU_DEP_2)
	v_add_co_ci_u32_e32 v5, vcc_lo, v1, v3, vcc_lo
	global_load_b128 v[29:32], v47, s[8:9]
	global_load_b128 v[0:3], v[4:5], off
	v_add_co_u32 v8, vcc_lo, v4, s3
	v_add_co_ci_u32_e32 v9, vcc_lo, s2, v5, vcc_lo
	global_load_b128 v[34:37], v47, s[8:9] offset:2704
	global_load_b128 v[4:7], v[8:9], off
	v_add_co_u32 v12, vcc_lo, v8, s3
	v_add_co_ci_u32_e32 v13, vcc_lo, s2, v9, vcc_lo
	v_add_co_u32 v14, vcc_lo, 0x1000, v255
	v_add_co_ci_u32_e32 v15, vcc_lo, 0, v180, vcc_lo
	global_load_b128 v[8:11], v[12:13], off
	global_load_b128 v[25:28], v[14:15], off offset:1312
	s_mov_b32 s8, 0xebaa3ed8
	s_mov_b32 s9, 0x3fbedb7d
	s_waitcnt vmcnt(4)
	v_mul_f64 v[16:17], v[2:3], v[31:32]
	v_mul_f64 v[18:19], v[0:1], v[31:32]
	s_waitcnt vmcnt(2)
	v_mul_f64 v[20:21], v[6:7], v[36:37]
	s_delay_alu instid0(VALU_DEP_3) | instskip(SKIP_1) | instid1(VALU_DEP_4)
	v_fma_f64 v[52:53], v[0:1], v[29:30], v[16:17]
	v_mul_f64 v[0:1], v[4:5], v[36:37]
	v_fma_f64 v[54:55], v[2:3], v[29:30], -v[18:19]
	s_waitcnt vmcnt(0)
	v_mul_f64 v[2:3], v[8:9], v[27:28]
	global_load_b128 v[14:17], v[14:15], off offset:4016
	scratch_store_b128 off, v[34:37], off offset:168 ; 16-byte Folded Spill
	v_fma_f64 v[56:57], v[4:5], v[34:35], v[20:21]
	v_add_co_u32 v4, vcc_lo, v12, s3
	v_add_co_ci_u32_e32 v5, vcc_lo, s2, v13, vcc_lo
	v_fma_f64 v[58:59], v[6:7], v[34:35], -v[0:1]
	v_mul_f64 v[0:1], v[10:11], v[27:28]
	v_fma_f64 v[62:63], v[10:11], v[25:26], -v[2:3]
	s_delay_alu instid0(VALU_DEP_2)
	v_fma_f64 v[60:61], v[8:9], v[25:26], v[0:1]
	global_load_b128 v[0:3], v[4:5], off
	v_add_co_u32 v8, vcc_lo, v4, s3
	v_add_co_ci_u32_e32 v9, vcc_lo, s2, v5, vcc_lo
	global_load_b128 v[4:7], v[8:9], off
	s_waitcnt vmcnt(2)
	scratch_store_b128 off, v[14:17], off offset:120 ; 16-byte Folded Spill
	s_waitcnt vmcnt(1)
	v_mul_f64 v[10:11], v[2:3], v[16:17]
	v_mul_f64 v[12:13], v[0:1], v[16:17]
	s_delay_alu instid0(VALU_DEP_2) | instskip(SKIP_2) | instid1(VALU_DEP_4)
	v_fma_f64 v[0:1], v[0:1], v[14:15], v[10:11]
	v_add_co_u32 v10, vcc_lo, 0x2000, v255
	v_add_co_ci_u32_e32 v11, vcc_lo, 0, v180, vcc_lo
	v_fma_f64 v[2:3], v[2:3], v[14:15], -v[12:13]
	global_load_b128 v[14:17], v[10:11], off offset:2624
	scratch_store_b128 off, v[25:28], off offset:8 ; 16-byte Folded Spill
	s_waitcnt vmcnt(0)
	scratch_store_b128 off, v[14:17], off offset:40 ; 16-byte Folded Spill
	v_mul_f64 v[12:13], v[4:5], v[16:17]
	v_mul_f64 v[10:11], v[6:7], v[16:17]
	s_delay_alu instid0(VALU_DEP_2)
	v_fma_f64 v[6:7], v[6:7], v[14:15], -v[12:13]
	v_add_co_u32 v12, vcc_lo, v8, s3
	v_add_co_ci_u32_e32 v13, vcc_lo, s2, v9, vcc_lo
	v_add_co_u32 v8, vcc_lo, 0x3000, v255
	v_add_co_ci_u32_e32 v9, vcc_lo, 0, v180, vcc_lo
	v_fma_f64 v[4:5], v[4:5], v[14:15], v[10:11]
	global_load_b128 v[25:28], v[8:9], off offset:1232
	scratch_store_b128 off, v[29:32], off offset:152 ; 16-byte Folded Spill
	s_waitcnt vmcnt(0)
	scratch_store_b128 off, v[25:28], off offset:56 ; 16-byte Folded Spill
	global_load_b128 v[18:21], v[8:9], off offset:3936
	global_load_b128 v[8:11], v[12:13], off
	s_waitcnt vmcnt(0)
	v_mul_f64 v[16:17], v[8:9], v[27:28]
	v_mul_f64 v[14:15], v[10:11], v[27:28]
	s_delay_alu instid0(VALU_DEP_2) | instskip(SKIP_2) | instid1(VALU_DEP_4)
	v_fma_f64 v[10:11], v[10:11], v[25:26], -v[16:17]
	v_add_co_u32 v16, vcc_lo, v12, s3
	v_add_co_ci_u32_e32 v17, vcc_lo, s2, v13, vcc_lo
	v_fma_f64 v[8:9], v[8:9], v[25:26], v[14:15]
	v_dual_mov_b32 v28, v21 :: v_dual_mov_b32 v27, v20
	global_load_b128 v[12:15], v[16:17], off
	v_dual_mov_b32 v26, v19 :: v_dual_mov_b32 v25, v18
	scratch_store_b128 off, v[25:28], off offset:24 ; 16-byte Folded Spill
	s_waitcnt vmcnt(0)
	v_mul_f64 v[20:21], v[12:13], v[27:28]
	v_mul_f64 v[18:19], v[14:15], v[27:28]
	s_delay_alu instid0(VALU_DEP_2)
	v_fma_f64 v[14:15], v[14:15], v[25:26], -v[20:21]
	v_add_co_u32 v20, vcc_lo, v16, s3
	v_add_co_ci_u32_e32 v21, vcc_lo, s2, v17, vcc_lo
	v_add_co_u32 v16, vcc_lo, 0x4000, v255
	v_add_co_ci_u32_e32 v17, vcc_lo, 0, v180, vcc_lo
	v_fma_f64 v[12:13], v[12:13], v[25:26], v[18:19]
	global_load_b128 v[27:30], v[16:17], off offset:2544
	global_load_b128 v[16:19], v[20:21], off
	s_waitcnt vmcnt(0)
	v_mul_f64 v[25:26], v[16:17], v[29:30]
	v_mul_f64 v[22:23], v[18:19], v[29:30]
	s_delay_alu instid0(VALU_DEP_2)
	v_fma_f64 v[18:19], v[18:19], v[27:28], -v[25:26]
	v_add_co_u32 v25, vcc_lo, v20, s3
	v_add_co_ci_u32_e32 v26, vcc_lo, s2, v21, vcc_lo
	v_add_co_u32 v20, vcc_lo, 0x5000, v255
	v_add_co_ci_u32_e32 v21, vcc_lo, 0, v180, vcc_lo
	v_fma_f64 v[16:17], v[16:17], v[27:28], v[22:23]
	global_load_b128 v[34:37], v[20:21], off offset:1152
	scratch_store_b128 off, v[27:30], off offset:104 ; 16-byte Folded Spill
	s_waitcnt vmcnt(0)
	scratch_store_b128 off, v[34:37], off offset:72 ; 16-byte Folded Spill
	global_load_b128 v[38:41], v[20:21], off offset:3856
	global_load_b128 v[20:23], v[25:26], off
	s_waitcnt vmcnt(1)
	scratch_store_b128 off, v[38:41], off offset:88 ; 16-byte Folded Spill
	s_waitcnt vmcnt(0)
	v_mul_f64 v[29:30], v[20:21], v[36:37]
	v_mul_f64 v[27:28], v[22:23], v[36:37]
	s_delay_alu instid0(VALU_DEP_2) | instskip(SKIP_2) | instid1(VALU_DEP_4)
	v_fma_f64 v[22:23], v[22:23], v[34:35], -v[29:30]
	v_add_co_u32 v29, vcc_lo, v25, s3
	v_add_co_ci_u32_e32 v30, vcc_lo, s2, v26, vcc_lo
	v_fma_f64 v[20:21], v[20:21], v[34:35], v[27:28]
	global_load_b128 v[25:28], v[29:30], off
	s_waitcnt vmcnt(0)
	v_mul_f64 v[36:37], v[25:26], v[40:41]
	v_mul_f64 v[31:32], v[27:28], v[40:41]
	s_delay_alu instid0(VALU_DEP_2)
	v_fma_f64 v[27:28], v[27:28], v[38:39], -v[36:37]
	v_add_co_u32 v36, vcc_lo, v29, s3
	v_add_co_ci_u32_e32 v37, vcc_lo, s2, v30, vcc_lo
	v_add_co_u32 v29, vcc_lo, 0x6000, v255
	v_add_co_ci_u32_e32 v30, vcc_lo, 0, v180, vcc_lo
	v_fma_f64 v[25:26], v[25:26], v[38:39], v[31:32]
	v_add_co_u32 v64, vcc_lo, v36, s3
	global_load_b128 v[40:43], v[29:30], off offset:2464
	global_load_b128 v[29:32], v[36:37], off
	v_add_co_ci_u32_e32 v65, vcc_lo, s2, v37, vcc_lo
	v_add_co_u32 v36, vcc_lo, 0x7000, v255
	v_add_co_ci_u32_e32 v37, vcc_lo, 0, v180, vcc_lo
	s_waitcnt vmcnt(1)
	scratch_store_b128 off, v[40:43], off offset:136 ; 16-byte Folded Spill
	s_waitcnt vmcnt(0)
	v_mul_f64 v[38:39], v[31:32], v[42:43]
	v_mul_f64 v[44:45], v[29:30], v[42:43]
	s_delay_alu instid0(VALU_DEP_2) | instskip(NEXT) | instid1(VALU_DEP_2)
	v_fma_f64 v[29:30], v[29:30], v[40:41], v[38:39]
	v_fma_f64 v[31:32], v[31:32], v[40:41], -v[44:45]
	s_clause 0x1
	global_load_b128 v[40:43], v[36:37], off offset:1072
	global_load_b128 v[48:51], v[36:37], off offset:3776
	global_load_b128 v[36:39], v[64:65], off
	v_add_co_u32 v64, vcc_lo, v64, s3
	v_add_co_ci_u32_e32 v65, vcc_lo, s2, v65, vcc_lo
	s_mov_b32 s2, 0x2ef20147
	s_mov_b32 s3, 0xbfedeba7
	;; [unrolled: 1-line block ×3, first 2 shown]
	s_waitcnt vmcnt(2)
	scratch_store_b128 off, v[40:43], off offset:184 ; 16-byte Folded Spill
	s_waitcnt vmcnt(1)
	scratch_store_b128 off, v[48:51], off offset:200 ; 16-byte Folded Spill
	s_waitcnt vmcnt(0)
	v_mul_f64 v[66:67], v[38:39], v[42:43]
	v_mul_f64 v[68:69], v[36:37], v[42:43]
	s_delay_alu instid0(VALU_DEP_2)
	v_fma_f64 v[36:37], v[36:37], v[40:41], v[66:67]
	global_load_b128 v[64:67], v[64:65], off
	v_fma_f64 v[38:39], v[38:39], v[40:41], -v[68:69]
	s_waitcnt vmcnt(0)
	v_mul_f64 v[68:69], v[66:67], v[50:51]
	v_mul_f64 v[70:71], v[64:65], v[50:51]
	s_delay_alu instid0(VALU_DEP_2) | instskip(NEXT) | instid1(VALU_DEP_2)
	v_fma_f64 v[64:65], v[64:65], v[48:49], v[68:69]
	v_fma_f64 v[66:67], v[66:67], v[48:49], -v[70:71]
	ds_store_b128 v47, v[52:55]
	ds_store_b128 v47, v[56:59] offset:2704
	ds_store_b128 v47, v[60:63] offset:5408
	;; [unrolled: 1-line block ×12, first 2 shown]
	s_load_b128 s[4:7], s[6:7], 0x0
	s_waitcnt lgkmcnt(0)
	s_waitcnt_vscnt null, 0x0
	s_barrier
	buffer_gl0_inv
	ds_load_b128 v[52:55], v47
	ds_load_b128 v[56:59], v47 offset:2704
	ds_load_b128 v[60:63], v47 offset:5408
	;; [unrolled: 1-line block ×9, first 2 shown]
	s_waitcnt lgkmcnt(8)
	v_add_f64 v[0:1], v[52:53], v[56:57]
	v_add_f64 v[2:3], v[54:55], v[58:59]
	s_waitcnt lgkmcnt(2)
	v_add_f64 v[84:85], v[76:77], v[80:81]
	v_add_f64 v[86:87], v[78:79], v[82:83]
	s_waitcnt lgkmcnt(0)
	v_add_f64 v[88:89], v[68:69], -v[8:9]
	v_add_f64 v[90:91], v[70:71], -v[10:11]
	v_add_f64 v[0:1], v[0:1], v[60:61]
	v_add_f64 v[2:3], v[2:3], v[62:63]
	s_delay_alu instid0(VALU_DEP_2) | instskip(NEXT) | instid1(VALU_DEP_2)
	v_add_f64 v[0:1], v[0:1], v[64:65]
	v_add_f64 v[2:3], v[2:3], v[66:67]
	s_delay_alu instid0(VALU_DEP_2) | instskip(NEXT) | instid1(VALU_DEP_2)
	;; [unrolled: 3-line block ×4, first 2 shown]
	v_add_f64 v[0:1], v[0:1], v[76:77]
	v_add_f64 v[2:3], v[2:3], v[78:79]
	v_add_f64 v[76:77], v[76:77], -v[80:81]
	v_add_f64 v[78:79], v[78:79], -v[82:83]
	s_delay_alu instid0(VALU_DEP_4) | instskip(NEXT) | instid1(VALU_DEP_4)
	v_add_f64 v[12:13], v[0:1], v[80:81]
	v_add_f64 v[14:15], v[2:3], v[82:83]
	;; [unrolled: 1-line block ×4, first 2 shown]
	v_add_f64 v[80:81], v[72:73], -v[4:5]
	v_add_f64 v[82:83], v[74:75], -v[6:7]
	v_add_f64 v[72:73], v[68:69], v[8:9]
	v_add_f64 v[74:75], v[70:71], v[10:11]
	;; [unrolled: 1-line block ×4, first 2 shown]
	s_delay_alu instid0(VALU_DEP_2) | instskip(NEXT) | instid1(VALU_DEP_2)
	v_add_f64 v[14:15], v[4:5], v[8:9]
	v_add_f64 v[16:17], v[6:7], v[10:11]
	ds_load_b128 v[6:9], v47 offset:27040
	ds_load_b128 v[10:13], v47 offset:29744
	s_waitcnt lgkmcnt(1)
	v_add_f64 v[70:71], v[66:67], v[8:9]
	v_add_f64 v[4:5], v[66:67], -v[8:9]
	v_add_f64 v[68:69], v[64:65], v[6:7]
	v_add_f64 v[92:93], v[64:65], -v[6:7]
	s_waitcnt lgkmcnt(0)
	v_add_f64 v[64:65], v[60:61], v[10:11]
	v_add_f64 v[66:67], v[62:63], v[12:13]
	v_add_f64 v[14:15], v[14:15], v[6:7]
	v_add_f64 v[8:9], v[16:17], v[8:9]
	v_add_f64 v[6:7], v[60:61], -v[10:11]
	v_add_f64 v[60:61], v[62:63], -v[12:13]
	s_delay_alu instid0(VALU_DEP_4) | instskip(NEXT) | instid1(VALU_DEP_4)
	v_add_f64 v[14:15], v[14:15], v[10:11]
	v_add_f64 v[12:13], v[8:9], v[12:13]
	ds_load_b128 v[8:11], v47 offset:32448
	s_waitcnt lgkmcnt(0)
	s_barrier
	buffer_gl0_inv
	v_add_f64 v[16:17], v[58:59], -v[10:11]
	v_add_f64 v[18:19], v[56:57], v[8:9]
	v_add_f64 v[20:21], v[58:59], v[10:11]
	v_add_f64 v[22:23], v[56:57], -v[8:9]
	v_add_f64 v[56:57], v[14:15], v[8:9]
	v_add_f64 v[58:59], v[12:13], v[10:11]
	v_mul_f64 v[8:9], v[16:17], s[26:27]
	v_mul_f64 v[10:11], v[16:17], s[24:25]
	;; [unrolled: 1-line block ×8, first 2 shown]
	v_fma_f64 v[27:28], v[18:19], s[20:21], -v[8:9]
	v_fma_f64 v[8:9], v[18:19], s[20:21], v[8:9]
	v_fma_f64 v[29:30], v[18:19], s[18:19], -v[10:11]
	v_fma_f64 v[31:32], v[18:19], s[18:19], v[10:11]
	v_fma_f64 v[36:37], v[18:19], s[8:9], -v[12:13]
	v_fma_f64 v[12:13], v[18:19], s[8:9], v[12:13]
	v_fma_f64 v[38:39], v[18:19], s[16:17], -v[14:15]
	v_fma_f64 v[14:15], v[18:19], s[16:17], v[14:15]
	v_fma_f64 v[96:97], v[18:19], s[22:23], -v[25:26]
	v_fma_f64 v[25:26], v[18:19], s[22:23], v[25:26]
	v_fma_f64 v[98:99], v[18:19], s[28:29], -v[16:17]
	v_fma_f64 v[100:101], v[18:19], s[28:29], v[16:17]
	v_mul_f64 v[10:11], v[22:23], s[26:27]
	v_mul_f64 v[16:17], v[22:23], s[24:25]
	;; [unrolled: 1-line block ×4, first 2 shown]
	v_fma_f64 v[110:111], v[20:21], s[16:17], v[62:63]
	v_fma_f64 v[112:113], v[20:21], s[16:17], -v[62:63]
	v_fma_f64 v[114:115], v[20:21], s[22:23], v[94:95]
	v_fma_f64 v[116:117], v[20:21], s[22:23], -v[94:95]
	v_add_f64 v[62:63], v[52:53], v[27:28]
	v_add_f64 v[27:28], v[52:53], v[29:30]
	;; [unrolled: 1-line block ×4, first 2 shown]
	v_mul_f64 v[38:39], v[4:5], s[30:31]
	v_add_f64 v[128:129], v[52:53], v[14:15]
	v_add_f64 v[130:131], v[52:53], v[96:97]
	v_mul_f64 v[96:97], v[88:89], s[38:39]
	v_add_f64 v[14:15], v[52:53], v[100:101]
	v_fma_f64 v[102:103], v[20:21], s[20:21], v[10:11]
	v_fma_f64 v[106:107], v[20:21], s[18:19], v[16:17]
	;; [unrolled: 1-line block ×4, first 2 shown]
	v_fma_f64 v[120:121], v[20:21], s[28:29], -v[22:23]
	v_add_f64 v[22:23], v[52:53], v[25:26]
	v_mul_f64 v[25:26], v[60:61], s[2:3]
	v_fma_f64 v[18:19], v[20:21], s[8:9], -v[18:19]
	v_fma_f64 v[104:105], v[20:21], s[20:21], -v[10:11]
	;; [unrolled: 1-line block ×3, first 2 shown]
	v_add_f64 v[10:11], v[52:53], v[8:9]
	v_add_f64 v[110:111], v[54:55], v[110:111]
	;; [unrolled: 1-line block ×5, first 2 shown]
	v_mul_f64 v[100:101], v[80:81], s[34:35]
	v_mul_f64 v[116:117], v[78:79], s[36:37]
	v_add_f64 v[94:95], v[54:55], v[102:103]
	v_add_f64 v[29:30], v[54:55], v[106:107]
	v_add_f64 v[102:103], v[52:53], v[31:32]
	v_add_f64 v[106:107], v[52:53], v[36:37]
	v_mul_f64 v[36:37], v[6:7], s[2:3]
	v_add_f64 v[108:109], v[54:55], v[108:109]
	v_fma_f64 v[31:32], v[64:65], s[16:17], -v[25:26]
	v_add_f64 v[124:125], v[54:55], v[18:19]
	v_add_f64 v[18:19], v[52:53], v[98:99]
	v_mul_f64 v[52:53], v[92:93], s[30:31]
	v_fma_f64 v[25:26], v[64:65], s[16:17], v[25:26]
	v_add_f64 v[8:9], v[54:55], v[104:105]
	v_add_f64 v[104:105], v[54:55], v[16:17]
	;; [unrolled: 1-line block ×4, first 2 shown]
	v_mul_f64 v[54:55], v[90:91], s[38:39]
	v_mul_f64 v[98:99], v[82:83], s[34:35]
	;; [unrolled: 1-line block ×3, first 2 shown]
	v_add_f64 v[27:28], v[31:32], v[27:28]
	v_fma_f64 v[31:32], v[66:67], s[16:17], v[36:37]
	v_fma_f64 v[36:37], v[66:67], s[16:17], -v[36:37]
	v_add_f64 v[25:26], v[25:26], v[102:103]
	v_mul_f64 v[102:103], v[90:91], s[36:37]
	s_delay_alu instid0(VALU_DEP_4) | instskip(SKIP_4) | instid1(VALU_DEP_4)
	v_add_f64 v[29:30], v[31:32], v[29:30]
	v_fma_f64 v[31:32], v[68:69], s[28:29], -v[38:39]
	v_fma_f64 v[38:39], v[68:69], s[28:29], v[38:39]
	v_add_f64 v[36:37], v[36:37], v[104:105]
	v_mul_f64 v[104:105], v[88:89], s[36:37]
	v_add_f64 v[27:28], v[31:32], v[27:28]
	v_fma_f64 v[31:32], v[70:71], s[28:29], v[52:53]
	v_add_f64 v[25:26], v[38:39], v[25:26]
	v_fma_f64 v[38:39], v[70:71], s[28:29], -v[52:53]
	s_delay_alu instid0(VALU_DEP_3) | instskip(SKIP_1) | instid1(VALU_DEP_3)
	v_add_f64 v[29:30], v[31:32], v[29:30]
	v_fma_f64 v[31:32], v[72:73], s[22:23], -v[54:55]
	v_add_f64 v[36:37], v[38:39], v[36:37]
	v_fma_f64 v[38:39], v[72:73], s[22:23], v[54:55]
	s_delay_alu instid0(VALU_DEP_3) | instskip(SKIP_1) | instid1(VALU_DEP_3)
	v_add_f64 v[27:28], v[31:32], v[27:28]
	v_fma_f64 v[31:32], v[74:75], s[22:23], v[96:97]
	v_add_f64 v[25:26], v[38:39], v[25:26]
	v_fma_f64 v[38:39], v[74:75], s[22:23], -v[96:97]
	v_mul_f64 v[96:97], v[6:7], s[30:31]
	s_delay_alu instid0(VALU_DEP_4) | instskip(SKIP_1) | instid1(VALU_DEP_4)
	v_add_f64 v[29:30], v[31:32], v[29:30]
	v_fma_f64 v[31:32], v[0:1], s[8:9], -v[98:99]
	v_add_f64 v[36:37], v[38:39], v[36:37]
	v_fma_f64 v[38:39], v[0:1], s[8:9], v[98:99]
	v_mul_f64 v[98:99], v[4:5], s[40:41]
	v_fma_f64 v[52:53], v[66:67], s[28:29], v[96:97]
	v_fma_f64 v[96:97], v[66:67], s[28:29], -v[96:97]
	v_add_f64 v[27:28], v[31:32], v[27:28]
	v_fma_f64 v[31:32], v[2:3], s[8:9], v[100:101]
	v_add_f64 v[25:26], v[38:39], v[25:26]
	v_fma_f64 v[38:39], v[2:3], s[8:9], -v[100:101]
	v_fma_f64 v[54:55], v[68:69], s[16:17], -v[98:99]
	v_mul_f64 v[100:101], v[92:93], s[40:41]
	v_add_f64 v[52:53], v[52:53], v[108:109]
	v_fma_f64 v[98:99], v[68:69], s[16:17], v[98:99]
	v_add_f64 v[96:97], v[96:97], v[124:125]
	v_mul_f64 v[108:109], v[80:81], s[24:25]
	v_add_f64 v[31:32], v[31:32], v[29:30]
	v_fma_f64 v[29:30], v[84:85], s[20:21], -v[116:117]
	v_add_f64 v[38:39], v[38:39], v[36:37]
	v_fma_f64 v[36:37], v[84:85], s[20:21], v[116:117]
	v_mul_f64 v[116:117], v[78:79], s[12:13]
	s_delay_alu instid0(VALU_DEP_4) | instskip(SKIP_1) | instid1(VALU_DEP_4)
	v_add_f64 v[29:30], v[29:30], v[27:28]
	v_mul_f64 v[27:28], v[76:77], s[36:37]
	v_add_f64 v[36:37], v[36:37], v[25:26]
	v_mul_f64 v[25:26], v[60:61], s[30:31]
	s_delay_alu instid0(VALU_DEP_3) | instskip(SKIP_1) | instid1(VALU_DEP_2)
	v_fma_f64 v[118:119], v[86:87], s[20:21], v[27:28]
	v_fma_f64 v[27:28], v[86:87], s[20:21], -v[27:28]
	v_add_f64 v[31:32], v[118:119], v[31:32]
	s_delay_alu instid0(VALU_DEP_2) | instskip(SKIP_2) | instid1(VALU_DEP_2)
	v_add_f64 v[38:39], v[27:28], v[38:39]
	v_fma_f64 v[27:28], v[64:65], s[28:29], -v[25:26]
	v_fma_f64 v[25:26], v[64:65], s[28:29], v[25:26]
	v_add_f64 v[27:28], v[27:28], v[106:107]
	s_delay_alu instid0(VALU_DEP_2) | instskip(SKIP_2) | instid1(VALU_DEP_4)
	v_add_f64 v[25:26], v[25:26], v[122:123]
	v_mul_f64 v[106:107], v[82:83], s[24:25]
	v_mul_f64 v[122:123], v[78:79], s[42:43]
	v_add_f64 v[27:28], v[54:55], v[27:28]
	v_fma_f64 v[54:55], v[70:71], s[16:17], v[100:101]
	v_add_f64 v[25:26], v[98:99], v[25:26]
	v_fma_f64 v[98:99], v[70:71], s[16:17], -v[100:101]
	s_delay_alu instid0(VALU_DEP_3) | instskip(SKIP_1) | instid1(VALU_DEP_3)
	v_add_f64 v[52:53], v[54:55], v[52:53]
	v_fma_f64 v[54:55], v[72:73], s[20:21], -v[102:103]
	v_add_f64 v[96:97], v[98:99], v[96:97]
	v_fma_f64 v[98:99], v[72:73], s[20:21], v[102:103]
	s_delay_alu instid0(VALU_DEP_3) | instskip(SKIP_1) | instid1(VALU_DEP_3)
	v_add_f64 v[27:28], v[54:55], v[27:28]
	v_fma_f64 v[54:55], v[74:75], s[20:21], v[104:105]
	v_add_f64 v[25:26], v[98:99], v[25:26]
	v_fma_f64 v[98:99], v[74:75], s[20:21], -v[104:105]
	v_mul_f64 v[104:105], v[6:7], s[38:39]
	s_delay_alu instid0(VALU_DEP_4) | instskip(SKIP_1) | instid1(VALU_DEP_4)
	v_add_f64 v[52:53], v[54:55], v[52:53]
	v_fma_f64 v[54:55], v[0:1], s[18:19], -v[106:107]
	v_add_f64 v[96:97], v[98:99], v[96:97]
	v_fma_f64 v[98:99], v[0:1], s[18:19], v[106:107]
	v_mul_f64 v[106:107], v[4:5], s[36:37]
	v_fma_f64 v[100:101], v[66:67], s[22:23], v[104:105]
	v_fma_f64 v[104:105], v[66:67], s[22:23], -v[104:105]
	v_add_f64 v[27:28], v[54:55], v[27:28]
	v_fma_f64 v[54:55], v[2:3], s[18:19], v[108:109]
	v_add_f64 v[25:26], v[98:99], v[25:26]
	v_fma_f64 v[98:99], v[2:3], s[18:19], -v[108:109]
	v_fma_f64 v[102:103], v[68:69], s[20:21], -v[106:107]
	v_mul_f64 v[108:109], v[92:93], s[36:37]
	v_add_f64 v[100:101], v[100:101], v[110:111]
	v_mul_f64 v[110:111], v[90:91], s[14:15]
	v_fma_f64 v[106:107], v[68:69], s[20:21], v[106:107]
	v_add_f64 v[104:105], v[104:105], v[112:113]
	v_mul_f64 v[112:113], v[6:7], s[34:35]
	v_add_f64 v[54:55], v[54:55], v[52:53]
	v_fma_f64 v[52:53], v[84:85], s[22:23], -v[116:117]
	v_add_f64 v[98:99], v[98:99], v[96:97]
	v_fma_f64 v[96:97], v[84:85], s[22:23], v[116:117]
	v_mul_f64 v[116:117], v[88:89], s[14:15]
	s_delay_alu instid0(VALU_DEP_4) | instskip(SKIP_1) | instid1(VALU_DEP_4)
	v_add_f64 v[52:53], v[52:53], v[27:28]
	v_mul_f64 v[27:28], v[76:77], s[12:13]
	v_add_f64 v[96:97], v[96:97], v[25:26]
	v_mul_f64 v[25:26], v[60:61], s[38:39]
	s_delay_alu instid0(VALU_DEP_3) | instskip(SKIP_1) | instid1(VALU_DEP_2)
	v_fma_f64 v[118:119], v[86:87], s[22:23], v[27:28]
	v_fma_f64 v[27:28], v[86:87], s[22:23], -v[27:28]
	v_add_f64 v[54:55], v[118:119], v[54:55]
	s_delay_alu instid0(VALU_DEP_2) | instskip(SKIP_3) | instid1(VALU_DEP_3)
	v_add_f64 v[98:99], v[27:28], v[98:99]
	v_fma_f64 v[27:28], v[64:65], s[22:23], -v[25:26]
	v_fma_f64 v[25:26], v[64:65], s[22:23], v[25:26]
	v_mul_f64 v[118:119], v[82:83], s[44:45]
	v_add_f64 v[27:28], v[27:28], v[126:127]
	s_delay_alu instid0(VALU_DEP_3) | instskip(SKIP_1) | instid1(VALU_DEP_3)
	v_add_f64 v[25:26], v[25:26], v[128:129]
	v_mul_f64 v[126:127], v[78:79], s[2:3]
	v_add_f64 v[27:28], v[102:103], v[27:28]
	v_fma_f64 v[102:103], v[70:71], s[20:21], v[108:109]
	s_delay_alu instid0(VALU_DEP_4) | instskip(SKIP_2) | instid1(VALU_DEP_4)
	v_add_f64 v[25:26], v[106:107], v[25:26]
	v_fma_f64 v[106:107], v[70:71], s[20:21], -v[108:109]
	v_fma_f64 v[108:109], v[66:67], s[8:9], v[112:113]
	v_add_f64 v[100:101], v[102:103], v[100:101]
	v_fma_f64 v[102:103], v[72:73], s[8:9], -v[110:111]
	s_delay_alu instid0(VALU_DEP_4)
	v_add_f64 v[104:105], v[106:107], v[104:105]
	v_fma_f64 v[106:107], v[72:73], s[8:9], v[110:111]
	v_add_f64 v[108:109], v[108:109], v[114:115]
	v_mul_f64 v[114:115], v[4:5], s[24:25]
	v_add_f64 v[27:28], v[102:103], v[27:28]
	v_fma_f64 v[102:103], v[74:75], s[8:9], v[116:117]
	v_add_f64 v[25:26], v[106:107], v[25:26]
	v_fma_f64 v[106:107], v[74:75], s[8:9], -v[116:117]
	v_fma_f64 v[110:111], v[68:69], s[18:19], -v[114:115]
	v_mul_f64 v[116:117], v[92:93], s[24:25]
	v_add_f64 v[100:101], v[102:103], v[100:101]
	v_fma_f64 v[102:103], v[0:1], s[28:29], -v[118:119]
	v_add_f64 v[104:105], v[106:107], v[104:105]
	v_fma_f64 v[106:107], v[0:1], s[28:29], v[118:119]
	v_mul_f64 v[118:119], v[90:91], s[44:45]
	s_delay_alu instid0(VALU_DEP_4) | instskip(SKIP_1) | instid1(VALU_DEP_4)
	v_add_f64 v[27:28], v[102:103], v[27:28]
	v_fma_f64 v[102:103], v[2:3], s[28:29], v[120:121]
	v_add_f64 v[25:26], v[106:107], v[25:26]
	v_fma_f64 v[106:107], v[2:3], s[28:29], -v[120:121]
	v_mul_f64 v[120:121], v[88:89], s[44:45]
	s_delay_alu instid0(VALU_DEP_4) | instskip(SKIP_1) | instid1(VALU_DEP_4)
	v_add_f64 v[102:103], v[102:103], v[100:101]
	v_fma_f64 v[100:101], v[84:85], s[18:19], -v[122:123]
	v_add_f64 v[106:107], v[106:107], v[104:105]
	v_fma_f64 v[104:105], v[84:85], s[18:19], v[122:123]
	v_mul_f64 v[122:123], v[82:83], s[36:37]
	s_delay_alu instid0(VALU_DEP_4) | instskip(SKIP_1) | instid1(VALU_DEP_4)
	v_add_f64 v[100:101], v[100:101], v[27:28]
	v_mul_f64 v[27:28], v[76:77], s[42:43]
	v_add_f64 v[104:105], v[104:105], v[25:26]
	v_mul_f64 v[25:26], v[60:61], s[34:35]
	s_delay_alu instid0(VALU_DEP_3) | instskip(SKIP_1) | instid1(VALU_DEP_2)
	v_fma_f64 v[124:125], v[86:87], s[18:19], v[27:28]
	v_fma_f64 v[27:28], v[86:87], s[18:19], -v[27:28]
	v_add_f64 v[102:103], v[124:125], v[102:103]
	s_delay_alu instid0(VALU_DEP_2) | instskip(SKIP_3) | instid1(VALU_DEP_3)
	v_add_f64 v[106:107], v[27:28], v[106:107]
	v_fma_f64 v[27:28], v[64:65], s[8:9], -v[25:26]
	v_fma_f64 v[25:26], v[64:65], s[8:9], v[25:26]
	v_mul_f64 v[124:125], v[80:81], s[36:37]
	v_add_f64 v[27:28], v[27:28], v[130:131]
	s_delay_alu instid0(VALU_DEP_3) | instskip(SKIP_1) | instid1(VALU_DEP_3)
	v_add_f64 v[22:23], v[25:26], v[22:23]
	v_fma_f64 v[25:26], v[66:67], s[8:9], -v[112:113]
	v_add_f64 v[27:28], v[110:111], v[27:28]
	v_fma_f64 v[110:111], v[70:71], s[18:19], v[116:117]
	s_delay_alu instid0(VALU_DEP_3) | instskip(SKIP_1) | instid1(VALU_DEP_3)
	v_add_f64 v[20:21], v[25:26], v[20:21]
	v_fma_f64 v[25:26], v[68:69], s[18:19], v[114:115]
	v_add_f64 v[108:109], v[110:111], v[108:109]
	v_fma_f64 v[110:111], v[72:73], s[28:29], -v[118:119]
	s_delay_alu instid0(VALU_DEP_3) | instskip(SKIP_1) | instid1(VALU_DEP_3)
	v_add_f64 v[22:23], v[25:26], v[22:23]
	v_fma_f64 v[25:26], v[70:71], s[18:19], -v[116:117]
	v_add_f64 v[27:28], v[110:111], v[27:28]
	v_fma_f64 v[110:111], v[74:75], s[28:29], v[120:121]
	s_delay_alu instid0(VALU_DEP_3) | instskip(SKIP_1) | instid1(VALU_DEP_3)
	v_add_f64 v[20:21], v[25:26], v[20:21]
	v_fma_f64 v[25:26], v[72:73], s[28:29], v[118:119]
	v_add_f64 v[108:109], v[110:111], v[108:109]
	v_fma_f64 v[110:111], v[0:1], s[20:21], -v[122:123]
	;; [unrolled: 10-line block ×3, first 2 shown]
	s_delay_alu instid0(VALU_DEP_3) | instskip(SKIP_1) | instid1(VALU_DEP_3)
	v_add_f64 v[22:23], v[25:26], v[22:23]
	v_fma_f64 v[25:26], v[2:3], s[20:21], -v[124:125]
	v_add_f64 v[108:109], v[108:109], v[27:28]
	v_mul_f64 v[27:28], v[76:77], s[2:3]
	s_delay_alu instid0(VALU_DEP_3)
	v_add_f64 v[25:26], v[25:26], v[20:21]
	v_fma_f64 v[20:21], v[84:85], s[16:17], v[126:127]
	v_mul_f64 v[126:127], v[78:79], s[34:35]
	v_mul_f64 v[78:79], v[78:79], s[30:31]
	v_fma_f64 v[128:129], v[86:87], s[16:17], v[27:28]
	v_fma_f64 v[27:28], v[86:87], s[16:17], -v[27:28]
	v_add_f64 v[20:21], v[20:21], v[22:23]
	s_delay_alu instid0(VALU_DEP_3) | instskip(NEXT) | instid1(VALU_DEP_3)
	v_add_f64 v[110:111], v[128:129], v[110:111]
	v_add_f64 v[22:23], v[27:28], v[25:26]
	v_mul_f64 v[25:26], v[60:61], s[36:37]
	v_mul_f64 v[128:129], v[76:77], s[34:35]
	v_mul_f64 v[76:77], v[76:77], s[30:31]
	s_delay_alu instid0(VALU_DEP_3) | instskip(SKIP_1) | instid1(VALU_DEP_2)
	v_fma_f64 v[27:28], v[64:65], s[20:21], -v[25:26]
	v_fma_f64 v[25:26], v[64:65], s[20:21], v[25:26]
	v_add_f64 v[18:19], v[27:28], v[18:19]
	v_mul_f64 v[27:28], v[6:7], s[36:37]
	s_delay_alu instid0(VALU_DEP_3) | instskip(NEXT) | instid1(VALU_DEP_2)
	v_add_f64 v[14:15], v[25:26], v[14:15]
	v_fma_f64 v[112:113], v[66:67], s[20:21], v[27:28]
	v_fma_f64 v[25:26], v[66:67], s[20:21], -v[27:28]
	v_fma_f64 v[27:28], v[86:87], s[8:9], -v[128:129]
	s_delay_alu instid0(VALU_DEP_3) | instskip(SKIP_1) | instid1(VALU_DEP_4)
	v_add_f64 v[16:17], v[112:113], v[16:17]
	v_mul_f64 v[112:113], v[4:5], s[12:13]
	v_add_f64 v[12:13], v[25:26], v[12:13]
	s_delay_alu instid0(VALU_DEP_2) | instskip(SKIP_1) | instid1(VALU_DEP_2)
	v_fma_f64 v[114:115], v[68:69], s[22:23], -v[112:113]
	v_fma_f64 v[25:26], v[68:69], s[22:23], v[112:113]
	v_add_f64 v[18:19], v[114:115], v[18:19]
	v_mul_f64 v[114:115], v[92:93], s[12:13]
	s_delay_alu instid0(VALU_DEP_3) | instskip(NEXT) | instid1(VALU_DEP_2)
	v_add_f64 v[14:15], v[25:26], v[14:15]
	v_fma_f64 v[116:117], v[70:71], s[22:23], v[114:115]
	v_fma_f64 v[25:26], v[70:71], s[22:23], -v[114:115]
	s_delay_alu instid0(VALU_DEP_2) | instskip(SKIP_1) | instid1(VALU_DEP_3)
	v_add_f64 v[16:17], v[116:117], v[16:17]
	v_mul_f64 v[116:117], v[90:91], s[42:43]
	v_add_f64 v[12:13], v[25:26], v[12:13]
	s_delay_alu instid0(VALU_DEP_2) | instskip(SKIP_1) | instid1(VALU_DEP_2)
	v_fma_f64 v[118:119], v[72:73], s[18:19], -v[116:117]
	v_fma_f64 v[25:26], v[72:73], s[18:19], v[116:117]
	v_add_f64 v[18:19], v[118:119], v[18:19]
	v_mul_f64 v[118:119], v[88:89], s[42:43]
	s_delay_alu instid0(VALU_DEP_3) | instskip(SKIP_1) | instid1(VALU_DEP_3)
	v_add_f64 v[14:15], v[25:26], v[14:15]
	v_mul_f64 v[88:89], v[88:89], s[2:3]
	v_fma_f64 v[120:121], v[74:75], s[18:19], v[118:119]
	v_fma_f64 v[25:26], v[74:75], s[18:19], -v[118:119]
	s_delay_alu instid0(VALU_DEP_2) | instskip(SKIP_1) | instid1(VALU_DEP_3)
	v_add_f64 v[16:17], v[120:121], v[16:17]
	v_mul_f64 v[120:121], v[82:83], s[2:3]
	v_add_f64 v[12:13], v[25:26], v[12:13]
	v_mul_f64 v[82:83], v[82:83], s[12:13]
	s_delay_alu instid0(VALU_DEP_3) | instskip(SKIP_1) | instid1(VALU_DEP_2)
	v_fma_f64 v[122:123], v[0:1], s[16:17], -v[120:121]
	v_fma_f64 v[25:26], v[0:1], s[16:17], v[120:121]
	v_add_f64 v[18:19], v[122:123], v[18:19]
	v_mul_f64 v[122:123], v[80:81], s[2:3]
	s_delay_alu instid0(VALU_DEP_3) | instskip(SKIP_1) | instid1(VALU_DEP_3)
	v_add_f64 v[14:15], v[25:26], v[14:15]
	v_mul_f64 v[80:81], v[80:81], s[12:13]
	v_fma_f64 v[25:26], v[2:3], s[16:17], -v[122:123]
	v_fma_f64 v[124:125], v[2:3], s[16:17], v[122:123]
	s_delay_alu instid0(VALU_DEP_2) | instskip(SKIP_1) | instid1(VALU_DEP_3)
	v_add_f64 v[25:26], v[25:26], v[12:13]
	v_fma_f64 v[12:13], v[84:85], s[8:9], v[126:127]
	v_add_f64 v[124:125], v[124:125], v[16:17]
	v_fma_f64 v[16:17], v[84:85], s[8:9], -v[126:127]
	s_delay_alu instid0(VALU_DEP_3) | instskip(SKIP_2) | instid1(VALU_DEP_4)
	v_add_f64 v[12:13], v[12:13], v[14:15]
	v_add_f64 v[14:15], v[27:28], v[25:26]
	v_mul_f64 v[25:26], v[60:61], s[24:25]
	v_add_f64 v[16:17], v[16:17], v[18:19]
	v_fma_f64 v[18:19], v[86:87], s[8:9], v[128:129]
	s_delay_alu instid0(VALU_DEP_3) | instskip(SKIP_1) | instid1(VALU_DEP_3)
	v_fma_f64 v[27:28], v[64:65], s[18:19], v[25:26]
	v_fma_f64 v[25:26], v[64:65], s[18:19], -v[25:26]
	v_add_f64 v[18:19], v[18:19], v[124:125]
	s_delay_alu instid0(VALU_DEP_3) | instskip(SKIP_1) | instid1(VALU_DEP_4)
	v_add_f64 v[10:11], v[27:28], v[10:11]
	v_mul_f64 v[27:28], v[6:7], s[24:25]
	v_add_f64 v[25:26], v[25:26], v[62:63]
	v_fma_f64 v[62:63], v[74:75], s[16:17], v[88:89]
	s_delay_alu instid0(VALU_DEP_3) | instskip(SKIP_1) | instid1(VALU_DEP_2)
	v_fma_f64 v[6:7], v[66:67], s[18:19], -v[27:28]
	v_fma_f64 v[27:28], v[66:67], s[18:19], v[27:28]
	v_add_f64 v[6:7], v[6:7], v[8:9]
	v_mul_f64 v[8:9], v[4:5], s[14:15]
	s_delay_alu instid0(VALU_DEP_3) | instskip(NEXT) | instid1(VALU_DEP_2)
	v_add_f64 v[27:28], v[27:28], v[94:95]
	v_fma_f64 v[4:5], v[68:69], s[8:9], v[8:9]
	v_fma_f64 v[8:9], v[68:69], s[8:9], -v[8:9]
	s_delay_alu instid0(VALU_DEP_2) | instskip(SKIP_1) | instid1(VALU_DEP_3)
	v_add_f64 v[4:5], v[4:5], v[10:11]
	v_mul_f64 v[10:11], v[92:93], s[14:15]
	v_add_f64 v[8:9], v[8:9], v[25:26]
	v_fma_f64 v[25:26], v[84:85], s[28:29], -v[78:79]
	s_delay_alu instid0(VALU_DEP_3) | instskip(SKIP_1) | instid1(VALU_DEP_2)
	v_fma_f64 v[60:61], v[70:71], s[8:9], -v[10:11]
	v_fma_f64 v[10:11], v[70:71], s[8:9], v[10:11]
	v_add_f64 v[6:7], v[60:61], v[6:7]
	v_mul_f64 v[60:61], v[90:91], s[2:3]
	s_delay_alu instid0(VALU_DEP_3) | instskip(SKIP_1) | instid1(VALU_DEP_3)
	v_add_f64 v[10:11], v[10:11], v[27:28]
	v_fma_f64 v[27:28], v[86:87], s[28:29], v[76:77]
	v_fma_f64 v[90:91], v[72:73], s[16:17], v[60:61]
	v_fma_f64 v[60:61], v[72:73], s[16:17], -v[60:61]
	s_delay_alu instid0(VALU_DEP_4) | instskip(NEXT) | instid1(VALU_DEP_3)
	v_add_f64 v[10:11], v[62:63], v[10:11]
	v_add_f64 v[4:5], v[90:91], v[4:5]
	v_fma_f64 v[90:91], v[74:75], s[16:17], -v[88:89]
	s_delay_alu instid0(VALU_DEP_4) | instskip(NEXT) | instid1(VALU_DEP_2)
	v_add_f64 v[8:9], v[60:61], v[8:9]
	v_add_f64 v[6:7], v[90:91], v[6:7]
	v_fma_f64 v[90:91], v[0:1], s[22:23], v[82:83]
	v_fma_f64 v[0:1], v[0:1], s[22:23], -v[82:83]
	s_delay_alu instid0(VALU_DEP_2) | instskip(SKIP_2) | instid1(VALU_DEP_4)
	v_add_f64 v[4:5], v[90:91], v[4:5]
	v_fma_f64 v[90:91], v[2:3], s[22:23], -v[80:81]
	v_fma_f64 v[2:3], v[2:3], s[22:23], v[80:81]
	v_add_f64 v[0:1], v[0:1], v[8:9]
	v_mul_lo_u16 v8, v24, 13
	s_delay_alu instid0(VALU_DEP_1) | instskip(NEXT) | instid1(VALU_DEP_1)
	v_and_b32_e32 v8, 0xffff, v8
	v_lshlrev_b32_e32 v68, 4, v8
	v_add_f64 v[6:7], v[90:91], v[6:7]
	v_fma_f64 v[90:91], v[84:85], s[28:29], v[78:79]
	v_add_f64 v[2:3], v[2:3], v[10:11]
	v_add_f64 v[0:1], v[25:26], v[0:1]
	s_delay_alu instid0(VALU_DEP_3) | instskip(SKIP_1) | instid1(VALU_DEP_4)
	v_add_f64 v[4:5], v[90:91], v[4:5]
	v_fma_f64 v[90:91], v[86:87], s[28:29], -v[76:77]
	v_add_f64 v[2:3], v[27:28], v[2:3]
	s_delay_alu instid0(VALU_DEP_2)
	v_add_f64 v[6:7], v[90:91], v[6:7]
	ds_store_b128 v68, v[29:32] offset:32
	ds_store_b128 v68, v[52:55] offset:48
	;; [unrolled: 1-line block ×12, first 2 shown]
	ds_store_b128 v68, v[56:59]
	v_and_b32_e32 v0, 0xff, v24
	s_waitcnt lgkmcnt(0)
	s_barrier
	buffer_gl0_inv
	v_mul_lo_u16 v0, 0x4f, v0
	s_delay_alu instid0(VALU_DEP_1) | instskip(NEXT) | instid1(VALU_DEP_1)
	v_lshrrev_b16 v29, 10, v0
	v_mul_lo_u16 v0, v29, 13
	s_delay_alu instid0(VALU_DEP_1) | instskip(NEXT) | instid1(VALU_DEP_1)
	v_sub_nc_u16 v0, v24, v0
	v_and_b32_e32 v30, 0xff, v0
	s_delay_alu instid0(VALU_DEP_1) | instskip(NEXT) | instid1(VALU_DEP_1)
	v_mul_u32_u24_e32 v0, 12, v30
	v_lshlrev_b32_e32 v18, 4, v0
	s_clause 0x1
	global_load_b128 v[14:17], v18, s[10:11]
	global_load_b128 v[249:252], v18, s[10:11] offset:16
	ds_load_b128 v[0:3], v47 offset:2704
	ds_load_b128 v[4:7], v47
	s_waitcnt vmcnt(1) lgkmcnt(1)
	v_mul_f64 v[8:9], v[2:3], v[16:17]
	scratch_store_b128 off, v[14:17], off offset:220 ; 16-byte Folded Spill
	v_fma_f64 v[12:13], v[0:1], v[14:15], -v[8:9]
	v_mul_f64 v[0:1], v[0:1], v[16:17]
	s_delay_alu instid0(VALU_DEP_1)
	v_fma_f64 v[14:15], v[2:3], v[14:15], v[0:1]
	ds_load_b128 v[0:3], v47 offset:5408
	ds_load_b128 v[8:11], v47 offset:8112
	s_clause 0x1
	global_load_b128 v[80:83], v18, s[10:11] offset:32
	global_load_b128 v[54:57], v18, s[10:11] offset:48
	s_waitcnt vmcnt(2) lgkmcnt(1)
	v_mul_f64 v[16:17], v[2:3], v[251:252]
	s_delay_alu instid0(VALU_DEP_1) | instskip(SKIP_1) | instid1(VALU_DEP_1)
	v_fma_f64 v[108:109], v[0:1], v[249:250], -v[16:17]
	v_mul_f64 v[0:1], v[0:1], v[251:252]
	v_fma_f64 v[110:111], v[2:3], v[249:250], v[0:1]
	s_waitcnt vmcnt(1) lgkmcnt(0)
	v_mul_f64 v[0:1], v[10:11], v[82:83]
	s_delay_alu instid0(VALU_DEP_1) | instskip(SKIP_1) | instid1(VALU_DEP_1)
	v_fma_f64 v[112:113], v[8:9], v[80:81], -v[0:1]
	v_mul_f64 v[0:1], v[8:9], v[82:83]
	v_fma_f64 v[114:115], v[10:11], v[80:81], v[0:1]
	ds_load_b128 v[0:3], v47 offset:10816
	ds_load_b128 v[8:11], v47 offset:13520
	s_clause 0x1
	global_load_b128 v[88:91], v18, s[10:11] offset:64
	global_load_b128 v[72:75], v18, s[10:11] offset:80
	s_waitcnt vmcnt(2) lgkmcnt(1)
	v_mul_f64 v[16:17], v[2:3], v[56:57]
	s_delay_alu instid0(VALU_DEP_1) | instskip(SKIP_1) | instid1(VALU_DEP_1)
	v_fma_f64 v[116:117], v[0:1], v[54:55], -v[16:17]
	v_mul_f64 v[0:1], v[0:1], v[56:57]
	v_fma_f64 v[118:119], v[2:3], v[54:55], v[0:1]
	s_waitcnt vmcnt(1) lgkmcnt(0)
	v_mul_f64 v[0:1], v[10:11], v[90:91]
	s_delay_alu instid0(VALU_DEP_1) | instskip(SKIP_1) | instid1(VALU_DEP_1)
	v_fma_f64 v[120:121], v[8:9], v[88:89], -v[0:1]
	v_mul_f64 v[0:1], v[8:9], v[90:91]
	v_fma_f64 v[122:123], v[10:11], v[88:89], v[0:1]
	ds_load_b128 v[0:3], v47 offset:16224
	ds_load_b128 v[8:11], v47 offset:18928
	s_clause 0x1
	global_load_b128 v[92:95], v18, s[10:11] offset:96
	global_load_b128 v[76:79], v18, s[10:11] offset:112
	s_waitcnt vmcnt(2) lgkmcnt(1)
	v_mul_f64 v[16:17], v[2:3], v[74:75]
	s_delay_alu instid0(VALU_DEP_1) | instskip(SKIP_1) | instid1(VALU_DEP_1)
	v_fma_f64 v[124:125], v[0:1], v[72:73], -v[16:17]
	v_mul_f64 v[0:1], v[0:1], v[74:75]
	v_fma_f64 v[126:127], v[2:3], v[72:73], v[0:1]
	s_waitcnt vmcnt(1) lgkmcnt(0)
	v_mul_f64 v[0:1], v[10:11], v[94:95]
	s_delay_alu instid0(VALU_DEP_1) | instskip(SKIP_1) | instid1(VALU_DEP_2)
	v_fma_f64 v[128:129], v[8:9], v[92:93], -v[0:1]
	v_mul_f64 v[0:1], v[8:9], v[94:95]
	v_add_f64 v[215:216], v[124:125], v[128:129]
	s_delay_alu instid0(VALU_DEP_2)
	v_fma_f64 v[130:131], v[10:11], v[92:93], v[0:1]
	ds_load_b128 v[0:3], v47 offset:21632
	ds_load_b128 v[8:11], v47 offset:24336
	s_clause 0x1
	global_load_b128 v[100:103], v18, s[10:11] offset:128
	global_load_b128 v[84:87], v18, s[10:11] offset:144
	v_add_f64 v[219:220], v[124:125], -v[128:129]
	s_waitcnt vmcnt(2) lgkmcnt(1)
	v_mul_f64 v[16:17], v[2:3], v[78:79]
	v_add_f64 v[213:214], v[126:127], -v[130:131]
	v_add_f64 v[221:222], v[126:127], v[130:131]
	s_delay_alu instid0(VALU_DEP_4) | instskip(NEXT) | instid1(VALU_DEP_4)
	v_mul_f64 v[223:224], v[219:220], s[30:31]
	v_fma_f64 v[132:133], v[0:1], v[76:77], -v[16:17]
	v_mul_f64 v[0:1], v[0:1], v[78:79]
	v_mul_f64 v[217:218], v[213:214], s[30:31]
	s_delay_alu instid0(VALU_DEP_2) | instskip(SKIP_2) | instid1(VALU_DEP_1)
	v_fma_f64 v[134:135], v[2:3], v[76:77], v[0:1]
	s_waitcnt vmcnt(1) lgkmcnt(0)
	v_mul_f64 v[0:1], v[10:11], v[102:103]
	v_fma_f64 v[136:137], v[8:9], v[100:101], -v[0:1]
	v_mul_f64 v[0:1], v[8:9], v[102:103]
	s_delay_alu instid0(VALU_DEP_1)
	v_fma_f64 v[138:139], v[10:11], v[100:101], v[0:1]
	ds_load_b128 v[0:3], v47 offset:27040
	ds_load_b128 v[8:11], v47 offset:29744
	s_clause 0x1
	global_load_b128 v[104:107], v18, s[10:11] offset:160
	global_load_b128 v[96:99], v18, s[10:11] offset:176
	s_waitcnt vmcnt(2) lgkmcnt(1)
	v_mul_f64 v[16:17], v[2:3], v[86:87]
	s_delay_alu instid0(VALU_DEP_1) | instskip(SKIP_1) | instid1(VALU_DEP_2)
	v_fma_f64 v[140:141], v[0:1], v[84:85], -v[16:17]
	v_mul_f64 v[0:1], v[0:1], v[86:87]
	v_add_f64 v[207:208], v[112:113], -v[140:141]
	s_delay_alu instid0(VALU_DEP_2) | instskip(NEXT) | instid1(VALU_DEP_1)
	v_fma_f64 v[142:143], v[2:3], v[84:85], v[0:1]
	v_add_f64 v[205:206], v[114:115], -v[142:143]
	s_waitcnt vmcnt(1) lgkmcnt(0)
	v_mul_f64 v[0:1], v[10:11], v[106:107]
	s_delay_alu instid0(VALU_DEP_1) | instskip(SKIP_1) | instid1(VALU_DEP_2)
	v_fma_f64 v[144:145], v[8:9], v[104:105], -v[0:1]
	v_mul_f64 v[0:1], v[8:9], v[106:107]
	v_add_f64 v[183:184], v[108:109], -v[144:145]
	s_delay_alu instid0(VALU_DEP_2)
	v_fma_f64 v[146:147], v[10:11], v[104:105], v[0:1]
	ds_load_b128 v[0:3], v47 offset:32448
	s_waitcnt vmcnt(0) lgkmcnt(0)
	s_waitcnt_vscnt null, 0x0
	s_barrier
	buffer_gl0_inv
	v_mul_f64 v[8:9], v[0:1], v[98:99]
	s_delay_alu instid0(VALU_DEP_1) | instskip(SKIP_1) | instid1(VALU_DEP_2)
	v_fma_f64 v[148:149], v[2:3], v[96:97], v[8:9]
	v_mul_f64 v[2:3], v[2:3], v[98:99]
	v_add_f64 v[154:155], v[14:15], v[148:149]
	s_delay_alu instid0(VALU_DEP_2) | instskip(SKIP_1) | instid1(VALU_DEP_2)
	v_fma_f64 v[150:151], v[0:1], v[96:97], -v[2:3]
	v_add_f64 v[0:1], v[14:15], -v[148:149]
	v_add_f64 v[20:21], v[12:13], v[150:151]
	s_delay_alu instid0(VALU_DEP_2)
	v_mul_f64 v[2:3], v[0:1], s[26:27]
	v_mul_f64 v[8:9], v[0:1], s[24:25]
	;; [unrolled: 1-line block ×6, first 2 shown]
	v_fma_f64 v[22:23], v[20:21], s[20:21], -v[2:3]
	v_fma_f64 v[2:3], v[20:21], s[20:21], v[2:3]
	v_fma_f64 v[24:25], v[20:21], s[18:19], -v[8:9]
	v_fma_f64 v[8:9], v[20:21], s[18:19], v[8:9]
	;; [unrolled: 2-line block ×6, first 2 shown]
	v_add_f64 v[20:21], v[12:13], -v[150:151]
	v_add_f64 v[203:204], v[4:5], v[24:25]
	v_add_f64 v[199:200], v[4:5], v[8:9]
	;; [unrolled: 1-line block ×4, first 2 shown]
	v_mul_f64 v[10:11], v[183:184], s[24:25]
	v_add_f64 v[187:188], v[4:5], v[31:32]
	v_add_f64 v[178:179], v[4:5], v[16:17]
	;; [unrolled: 1-line block ×3, first 2 shown]
	v_mul_f64 v[24:25], v[205:206], s[14:15]
	v_mul_f64 v[26:27], v[207:208], s[14:15]
	v_mul_f64 v[60:61], v[20:21], s[26:27]
	v_mul_f64 v[62:63], v[20:21], s[24:25]
	v_mul_f64 v[64:65], v[20:21], s[14:15]
	v_mul_f64 v[66:67], v[20:21], s[2:3]
	v_mul_f64 v[152:153], v[20:21], s[12:13]
	v_mul_f64 v[20:21], v[20:21], s[30:31]
	v_fma_f64 v[156:157], v[154:155], s[20:21], v[60:61]
	v_fma_f64 v[60:61], v[154:155], s[20:21], -v[60:61]
	v_fma_f64 v[160:161], v[154:155], s[8:9], v[64:65]
	v_fma_f64 v[164:165], v[154:155], s[16:17], v[66:67]
	;; [unrolled: 1-line block ×4, first 2 shown]
	v_fma_f64 v[174:175], v[154:155], s[22:23], -v[152:153]
	v_fma_f64 v[158:159], v[154:155], s[18:19], v[62:63]
	v_fma_f64 v[62:63], v[154:155], s[18:19], -v[62:63]
	v_fma_f64 v[162:163], v[154:155], s[8:9], -v[64:65]
	;; [unrolled: 1-line block ×4, first 2 shown]
	v_add_f64 v[152:153], v[4:5], v[12:13]
	v_add_f64 v[154:155], v[6:7], v[14:15]
	;; [unrolled: 1-line block ×10, first 2 shown]
	v_add_f64 v[181:182], v[110:111], -v[146:147]
	v_add_f64 v[168:169], v[108:109], v[144:145]
	v_add_f64 v[164:165], v[6:7], v[174:175]
	;; [unrolled: 1-line block ×11, first 2 shown]
	v_mul_f64 v[8:9], v[181:182], s[24:25]
	s_delay_alu instid0(VALU_DEP_1) | instskip(SKIP_1) | instid1(VALU_DEP_2)
	v_fma_f64 v[0:1], v[168:169], s[18:19], -v[8:9]
	v_fma_f64 v[8:9], v[168:169], s[18:19], v[8:9]
	v_add_f64 v[2:3], v[0:1], v[12:13]
	v_fma_f64 v[0:1], v[174:175], s[18:19], v[10:11]
	s_delay_alu instid0(VALU_DEP_3) | instskip(SKIP_1) | instid1(VALU_DEP_3)
	v_add_f64 v[8:9], v[8:9], v[66:67]
	v_fma_f64 v[10:11], v[174:175], s[18:19], -v[10:11]
	v_add_f64 v[4:5], v[0:1], v[14:15]
	v_add_f64 v[0:1], v[112:113], v[140:141]
	s_delay_alu instid0(VALU_DEP_3) | instskip(NEXT) | instid1(VALU_DEP_2)
	v_add_f64 v[10:11], v[10:11], v[64:65]
	v_fma_f64 v[6:7], v[0:1], s[8:9], -v[24:25]
	v_fma_f64 v[24:25], v[0:1], s[8:9], v[24:25]
	s_delay_alu instid0(VALU_DEP_2) | instskip(SKIP_1) | instid1(VALU_DEP_3)
	v_add_f64 v[6:7], v[6:7], v[2:3]
	v_add_f64 v[2:3], v[114:115], v[142:143]
	;; [unrolled: 1-line block ×3, first 2 shown]
	s_delay_alu instid0(VALU_DEP_2) | instskip(SKIP_2) | instid1(VALU_DEP_3)
	v_fma_f64 v[12:13], v[2:3], s[8:9], v[26:27]
	v_fma_f64 v[24:25], v[2:3], s[8:9], -v[26:27]
	v_fma_f64 v[26:27], v[221:222], s[28:29], -v[223:224]
	v_add_f64 v[16:17], v[12:13], v[4:5]
	v_add_f64 v[12:13], v[118:119], -v[138:139]
	v_add_f64 v[4:5], v[116:117], v[136:137]
	v_add_f64 v[10:11], v[24:25], v[10:11]
	s_delay_alu instid0(VALU_DEP_3) | instskip(NEXT) | instid1(VALU_DEP_1)
	v_mul_f64 v[31:32], v[12:13], s[2:3]
	v_fma_f64 v[14:15], v[4:5], s[16:17], -v[31:32]
	v_fma_f64 v[24:25], v[4:5], s[16:17], v[31:32]
	v_mul_f64 v[31:32], v[205:206], s[30:31]
	s_delay_alu instid0(VALU_DEP_3) | instskip(SKIP_3) | instid1(VALU_DEP_3)
	v_add_f64 v[18:19], v[14:15], v[6:7]
	v_add_f64 v[14:15], v[116:117], -v[136:137]
	v_add_f64 v[6:7], v[118:119], v[138:139]
	v_add_f64 v[8:9], v[24:25], v[8:9]
	v_mul_f64 v[36:37], v[14:15], s[2:3]
	s_delay_alu instid0(VALU_DEP_1) | instskip(SKIP_3) | instid1(VALU_DEP_4)
	v_fma_f64 v[20:21], v[6:7], s[16:17], v[36:37]
	v_fma_f64 v[24:25], v[6:7], s[16:17], -v[36:37]
	v_fma_f64 v[36:37], v[0:1], s[28:29], -v[31:32]
	v_fma_f64 v[31:32], v[0:1], s[28:29], v[31:32]
	v_add_f64 v[38:39], v[20:21], v[16:17]
	v_add_f64 v[20:21], v[122:123], -v[134:135]
	v_add_f64 v[16:17], v[120:121], v[132:133]
	v_add_f64 v[10:11], v[24:25], v[10:11]
	s_delay_alu instid0(VALU_DEP_3) | instskip(NEXT) | instid1(VALU_DEP_1)
	v_mul_f64 v[209:210], v[20:21], s[12:13]
	v_fma_f64 v[22:23], v[16:17], s[22:23], -v[209:210]
	v_fma_f64 v[24:25], v[16:17], s[22:23], v[209:210]
	s_delay_alu instid0(VALU_DEP_2) | instskip(SKIP_2) | instid1(VALU_DEP_4)
	v_add_f64 v[60:61], v[22:23], v[18:19]
	v_add_f64 v[22:23], v[120:121], -v[132:133]
	v_add_f64 v[18:19], v[122:123], v[134:135]
	v_add_f64 v[8:9], v[24:25], v[8:9]
	s_delay_alu instid0(VALU_DEP_3) | instskip(NEXT) | instid1(VALU_DEP_1)
	v_mul_f64 v[211:212], v[22:23], s[12:13]
	v_fma_f64 v[24:25], v[18:19], s[22:23], -v[211:212]
	v_fma_f64 v[62:63], v[18:19], s[22:23], v[211:212]
	s_delay_alu instid0(VALU_DEP_2) | instskip(SKIP_1) | instid1(VALU_DEP_3)
	v_add_f64 v[10:11], v[24:25], v[10:11]
	v_fma_f64 v[24:25], v[215:216], s[28:29], v[217:218]
	v_add_f64 v[38:39], v[62:63], v[38:39]
	v_fma_f64 v[62:63], v[215:216], s[28:29], -v[217:218]
	s_delay_alu instid0(VALU_DEP_4) | instskip(NEXT) | instid1(VALU_DEP_4)
	v_add_f64 v[66:67], v[26:27], v[10:11]
	v_add_f64 v[64:65], v[24:25], v[8:9]
	v_mul_f64 v[24:25], v[181:182], s[2:3]
	v_mul_f64 v[26:27], v[183:184], s[2:3]
	v_add_f64 v[60:61], v[62:63], v[60:61]
	v_fma_f64 v[62:63], v[221:222], s[28:29], v[223:224]
	s_delay_alu instid0(VALU_DEP_4) | instskip(NEXT) | instid1(VALU_DEP_4)
	v_fma_f64 v[8:9], v[168:169], s[16:17], -v[24:25]
	v_fma_f64 v[10:11], v[174:175], s[16:17], v[26:27]
	v_fma_f64 v[24:25], v[168:169], s[16:17], v[24:25]
	s_delay_alu instid0(VALU_DEP_4) | instskip(SKIP_4) | instid1(VALU_DEP_4)
	v_add_f64 v[62:63], v[62:63], v[38:39]
	v_fma_f64 v[26:27], v[174:175], s[16:17], -v[26:27]
	v_add_f64 v[8:9], v[8:9], v[203:204]
	v_add_f64 v[10:11], v[10:11], v[201:202]
	;; [unrolled: 1-line block ×4, first 2 shown]
	s_delay_alu instid0(VALU_DEP_4) | instskip(SKIP_1) | instid1(VALU_DEP_4)
	v_add_f64 v[8:9], v[36:37], v[8:9]
	v_mul_f64 v[36:37], v[207:208], s[30:31]
	v_add_f64 v[24:25], v[31:32], v[24:25]
	s_delay_alu instid0(VALU_DEP_2) | instskip(SKIP_1) | instid1(VALU_DEP_2)
	v_fma_f64 v[38:39], v[2:3], s[28:29], v[36:37]
	v_fma_f64 v[31:32], v[2:3], s[28:29], -v[36:37]
	v_add_f64 v[10:11], v[38:39], v[10:11]
	v_mul_f64 v[38:39], v[12:13], s[38:39]
	s_delay_alu instid0(VALU_DEP_3) | instskip(NEXT) | instid1(VALU_DEP_2)
	v_add_f64 v[26:27], v[31:32], v[26:27]
	v_fma_f64 v[201:202], v[4:5], s[22:23], -v[38:39]
	v_fma_f64 v[31:32], v[4:5], s[22:23], v[38:39]
	s_delay_alu instid0(VALU_DEP_2) | instskip(SKIP_1) | instid1(VALU_DEP_3)
	v_add_f64 v[8:9], v[201:202], v[8:9]
	v_mul_f64 v[201:202], v[14:15], s[38:39]
	v_add_f64 v[24:25], v[31:32], v[24:25]
	s_delay_alu instid0(VALU_DEP_2) | instskip(SKIP_1) | instid1(VALU_DEP_2)
	v_fma_f64 v[203:204], v[6:7], s[22:23], v[201:202]
	v_fma_f64 v[31:32], v[6:7], s[22:23], -v[201:202]
	v_add_f64 v[10:11], v[203:204], v[10:11]
	v_mul_f64 v[203:204], v[20:21], s[34:35]
	s_delay_alu instid0(VALU_DEP_3) | instskip(NEXT) | instid1(VALU_DEP_2)
	v_add_f64 v[26:27], v[31:32], v[26:27]
	v_fma_f64 v[209:210], v[16:17], s[8:9], -v[203:204]
	v_fma_f64 v[31:32], v[16:17], s[8:9], v[203:204]
	s_delay_alu instid0(VALU_DEP_2) | instskip(SKIP_1) | instid1(VALU_DEP_3)
	;; [unrolled: 13-line block ×3, first 2 shown]
	v_add_f64 v[8:9], v[217:218], v[8:9]
	v_mul_f64 v[217:218], v[219:220], s[36:37]
	v_add_f64 v[24:25], v[31:32], v[24:25]
	v_mul_f64 v[31:32], v[181:182], s[30:31]
	s_delay_alu instid0(VALU_DEP_3) | instskip(SKIP_1) | instid1(VALU_DEP_2)
	v_fma_f64 v[36:37], v[221:222], s[20:21], -v[217:218]
	v_fma_f64 v[223:224], v[221:222], s[20:21], v[217:218]
	v_add_f64 v[26:27], v[36:37], v[26:27]
	s_delay_alu instid0(VALU_DEP_4) | instskip(SKIP_1) | instid1(VALU_DEP_4)
	v_fma_f64 v[36:37], v[168:169], s[28:29], -v[31:32]
	v_fma_f64 v[31:32], v[168:169], s[28:29], v[31:32]
	v_add_f64 v[10:11], v[223:224], v[10:11]
	s_delay_alu instid0(VALU_DEP_3) | instskip(SKIP_1) | instid1(VALU_DEP_4)
	v_add_f64 v[36:37], v[36:37], v[195:196]
	v_mul_f64 v[195:196], v[183:184], s[30:31]
	v_add_f64 v[31:32], v[31:32], v[191:192]
	s_delay_alu instid0(VALU_DEP_2) | instskip(SKIP_1) | instid1(VALU_DEP_2)
	v_fma_f64 v[38:39], v[174:175], s[28:29], v[195:196]
	v_fma_f64 v[191:192], v[174:175], s[28:29], -v[195:196]
	v_add_f64 v[38:39], v[38:39], v[193:194]
	v_mul_f64 v[193:194], v[205:206], s[40:41]
	s_delay_alu instid0(VALU_DEP_3) | instskip(NEXT) | instid1(VALU_DEP_2)
	v_add_f64 v[189:190], v[191:192], v[189:190]
	v_fma_f64 v[197:198], v[0:1], s[16:17], -v[193:194]
	v_fma_f64 v[191:192], v[0:1], s[16:17], v[193:194]
	s_delay_alu instid0(VALU_DEP_2) | instskip(SKIP_1) | instid1(VALU_DEP_3)
	v_add_f64 v[36:37], v[197:198], v[36:37]
	v_mul_f64 v[197:198], v[207:208], s[40:41]
	v_add_f64 v[31:32], v[191:192], v[31:32]
	s_delay_alu instid0(VALU_DEP_2) | instskip(SKIP_1) | instid1(VALU_DEP_2)
	v_fma_f64 v[199:200], v[2:3], s[16:17], v[197:198]
	v_fma_f64 v[191:192], v[2:3], s[16:17], -v[197:198]
	v_add_f64 v[38:39], v[199:200], v[38:39]
	v_mul_f64 v[199:200], v[12:13], s[36:37]
	s_delay_alu instid0(VALU_DEP_3) | instskip(NEXT) | instid1(VALU_DEP_2)
	v_add_f64 v[189:190], v[191:192], v[189:190]
	v_fma_f64 v[201:202], v[4:5], s[20:21], -v[199:200]
	v_fma_f64 v[191:192], v[4:5], s[20:21], v[199:200]
	s_delay_alu instid0(VALU_DEP_2) | instskip(SKIP_1) | instid1(VALU_DEP_3)
	;; [unrolled: 13-line block ×4, first 2 shown]
	v_add_f64 v[36:37], v[217:218], v[36:37]
	v_mul_f64 v[217:218], v[219:220], s[12:13]
	v_add_f64 v[189:190], v[189:190], v[31:32]
	v_mul_f64 v[31:32], v[181:182], s[38:39]
	s_delay_alu instid0(VALU_DEP_3) | instskip(SKIP_2) | instid1(VALU_DEP_3)
	v_fma_f64 v[193:194], v[221:222], s[22:23], -v[217:218]
	v_fma_f64 v[223:224], v[221:222], s[22:23], v[217:218]
	v_mul_f64 v[217:218], v[213:214], s[42:43]
	v_add_f64 v[191:192], v[193:194], v[191:192]
	v_fma_f64 v[193:194], v[168:169], s[22:23], -v[31:32]
	v_fma_f64 v[31:32], v[168:169], s[22:23], v[31:32]
	v_add_f64 v[38:39], v[223:224], v[38:39]
	v_mul_f64 v[223:224], v[219:220], s[42:43]
	s_delay_alu instid0(VALU_DEP_4) | instskip(SKIP_2) | instid1(VALU_DEP_2)
	v_add_f64 v[187:188], v[193:194], v[187:188]
	v_mul_f64 v[193:194], v[183:184], s[38:39]
	v_add_f64 v[31:32], v[31:32], v[178:179]
	v_fma_f64 v[195:196], v[174:175], s[22:23], v[193:194]
	v_fma_f64 v[178:179], v[174:175], s[22:23], -v[193:194]
	v_fma_f64 v[193:194], v[221:222], s[18:19], -v[223:224]
	s_delay_alu instid0(VALU_DEP_3) | instskip(SKIP_1) | instid1(VALU_DEP_4)
	v_add_f64 v[185:186], v[195:196], v[185:186]
	v_mul_f64 v[195:196], v[205:206], s[36:37]
	v_add_f64 v[176:177], v[178:179], v[176:177]
	s_delay_alu instid0(VALU_DEP_2) | instskip(SKIP_1) | instid1(VALU_DEP_2)
	v_fma_f64 v[197:198], v[0:1], s[20:21], -v[195:196]
	v_fma_f64 v[178:179], v[0:1], s[20:21], v[195:196]
	v_add_f64 v[187:188], v[197:198], v[187:188]
	v_mul_f64 v[197:198], v[207:208], s[36:37]
	s_delay_alu instid0(VALU_DEP_3) | instskip(NEXT) | instid1(VALU_DEP_2)
	v_add_f64 v[31:32], v[178:179], v[31:32]
	v_fma_f64 v[199:200], v[2:3], s[20:21], v[197:198]
	v_fma_f64 v[178:179], v[2:3], s[20:21], -v[197:198]
	s_delay_alu instid0(VALU_DEP_2) | instskip(SKIP_1) | instid1(VALU_DEP_3)
	v_add_f64 v[185:186], v[199:200], v[185:186]
	v_mul_f64 v[199:200], v[12:13], s[14:15]
	v_add_f64 v[176:177], v[178:179], v[176:177]
	s_delay_alu instid0(VALU_DEP_2) | instskip(SKIP_1) | instid1(VALU_DEP_2)
	v_fma_f64 v[201:202], v[4:5], s[8:9], -v[199:200]
	v_fma_f64 v[178:179], v[4:5], s[8:9], v[199:200]
	v_add_f64 v[187:188], v[201:202], v[187:188]
	v_mul_f64 v[201:202], v[14:15], s[14:15]
	s_delay_alu instid0(VALU_DEP_3) | instskip(NEXT) | instid1(VALU_DEP_2)
	v_add_f64 v[31:32], v[178:179], v[31:32]
	v_fma_f64 v[203:204], v[6:7], s[8:9], v[201:202]
	v_fma_f64 v[178:179], v[6:7], s[8:9], -v[201:202]
	s_delay_alu instid0(VALU_DEP_2) | instskip(SKIP_1) | instid1(VALU_DEP_3)
	v_add_f64 v[185:186], v[203:204], v[185:186]
	v_mul_f64 v[203:204], v[20:21], s[44:45]
	v_add_f64 v[176:177], v[178:179], v[176:177]
	s_delay_alu instid0(VALU_DEP_2) | instskip(SKIP_1) | instid1(VALU_DEP_2)
	v_fma_f64 v[209:210], v[16:17], s[28:29], -v[203:204]
	v_fma_f64 v[178:179], v[16:17], s[28:29], v[203:204]
	v_add_f64 v[187:188], v[209:210], v[187:188]
	v_mul_f64 v[209:210], v[22:23], s[44:45]
	s_delay_alu instid0(VALU_DEP_3) | instskip(NEXT) | instid1(VALU_DEP_2)
	v_add_f64 v[31:32], v[178:179], v[31:32]
	v_fma_f64 v[178:179], v[18:19], s[28:29], -v[209:210]
	v_fma_f64 v[211:212], v[18:19], s[28:29], v[209:210]
	s_delay_alu instid0(VALU_DEP_2) | instskip(SKIP_1) | instid1(VALU_DEP_3)
	v_add_f64 v[178:179], v[178:179], v[176:177]
	v_fma_f64 v[176:177], v[215:216], s[18:19], v[217:218]
	v_add_f64 v[211:212], v[211:212], v[185:186]
	v_fma_f64 v[185:186], v[215:216], s[18:19], -v[217:218]
	v_mul_f64 v[217:218], v[213:214], s[2:3]
	v_add_f64 v[178:179], v[193:194], v[178:179]
	v_add_f64 v[176:177], v[176:177], v[31:32]
	v_mul_f64 v[31:32], v[181:182], s[34:35]
	v_add_f64 v[185:186], v[185:186], v[187:188]
	v_fma_f64 v[187:188], v[221:222], s[18:19], v[223:224]
	v_mul_f64 v[223:224], v[219:220], s[2:3]
	s_delay_alu instid0(VALU_DEP_4) | instskip(SKIP_1) | instid1(VALU_DEP_4)
	v_fma_f64 v[193:194], v[168:169], s[8:9], -v[31:32]
	v_fma_f64 v[31:32], v[168:169], s[8:9], v[31:32]
	v_add_f64 v[187:188], v[187:188], v[211:212]
	s_delay_alu instid0(VALU_DEP_3) | instskip(SKIP_1) | instid1(VALU_DEP_4)
	v_add_f64 v[172:173], v[193:194], v[172:173]
	v_mul_f64 v[193:194], v[183:184], s[34:35]
	v_add_f64 v[31:32], v[31:32], v[166:167]
	s_delay_alu instid0(VALU_DEP_2) | instskip(SKIP_2) | instid1(VALU_DEP_3)
	v_fma_f64 v[195:196], v[174:175], s[8:9], v[193:194]
	v_fma_f64 v[166:167], v[174:175], s[8:9], -v[193:194]
	v_fma_f64 v[193:194], v[221:222], s[16:17], -v[223:224]
	v_add_f64 v[170:171], v[195:196], v[170:171]
	v_mul_f64 v[195:196], v[205:206], s[24:25]
	s_delay_alu instid0(VALU_DEP_4) | instskip(NEXT) | instid1(VALU_DEP_2)
	v_add_f64 v[164:165], v[166:167], v[164:165]
	v_fma_f64 v[197:198], v[0:1], s[18:19], -v[195:196]
	v_fma_f64 v[166:167], v[0:1], s[18:19], v[195:196]
	s_delay_alu instid0(VALU_DEP_2) | instskip(SKIP_1) | instid1(VALU_DEP_3)
	v_add_f64 v[172:173], v[197:198], v[172:173]
	v_mul_f64 v[197:198], v[207:208], s[24:25]
	v_add_f64 v[31:32], v[166:167], v[31:32]
	s_delay_alu instid0(VALU_DEP_2) | instskip(SKIP_2) | instid1(VALU_DEP_3)
	v_fma_f64 v[199:200], v[2:3], s[18:19], v[197:198]
	v_fma_f64 v[166:167], v[2:3], s[18:19], -v[197:198]
	v_mul_f64 v[197:198], v[219:220], s[34:35]
	v_add_f64 v[170:171], v[199:200], v[170:171]
	v_mul_f64 v[199:200], v[12:13], s[44:45]
	s_delay_alu instid0(VALU_DEP_4) | instskip(NEXT) | instid1(VALU_DEP_2)
	v_add_f64 v[164:165], v[166:167], v[164:165]
	v_fma_f64 v[201:202], v[4:5], s[28:29], -v[199:200]
	v_fma_f64 v[166:167], v[4:5], s[28:29], v[199:200]
	s_delay_alu instid0(VALU_DEP_2) | instskip(SKIP_1) | instid1(VALU_DEP_3)
	v_add_f64 v[172:173], v[201:202], v[172:173]
	v_mul_f64 v[201:202], v[14:15], s[44:45]
	v_add_f64 v[31:32], v[166:167], v[31:32]
	s_delay_alu instid0(VALU_DEP_2) | instskip(SKIP_1) | instid1(VALU_DEP_2)
	v_fma_f64 v[203:204], v[6:7], s[28:29], v[201:202]
	v_fma_f64 v[166:167], v[6:7], s[28:29], -v[201:202]
	v_add_f64 v[170:171], v[203:204], v[170:171]
	v_mul_f64 v[203:204], v[20:21], s[36:37]
	s_delay_alu instid0(VALU_DEP_3) | instskip(SKIP_1) | instid1(VALU_DEP_3)
	v_add_f64 v[164:165], v[166:167], v[164:165]
	v_mul_f64 v[20:21], v[20:21], s[2:3]
	v_fma_f64 v[209:210], v[16:17], s[20:21], -v[203:204]
	v_fma_f64 v[166:167], v[16:17], s[20:21], v[203:204]
	s_delay_alu instid0(VALU_DEP_2) | instskip(SKIP_1) | instid1(VALU_DEP_3)
	v_add_f64 v[172:173], v[209:210], v[172:173]
	v_mul_f64 v[209:210], v[22:23], s[36:37]
	v_add_f64 v[31:32], v[166:167], v[31:32]
	v_mul_f64 v[22:23], v[22:23], s[2:3]
	s_delay_alu instid0(VALU_DEP_3) | instskip(SKIP_1) | instid1(VALU_DEP_2)
	v_fma_f64 v[166:167], v[18:19], s[20:21], -v[209:210]
	v_fma_f64 v[211:212], v[18:19], s[20:21], v[209:210]
	v_add_f64 v[166:167], v[166:167], v[164:165]
	v_fma_f64 v[164:165], v[215:216], s[16:17], v[217:218]
	s_delay_alu instid0(VALU_DEP_3) | instskip(SKIP_1) | instid1(VALU_DEP_4)
	v_add_f64 v[211:212], v[211:212], v[170:171]
	v_fma_f64 v[170:171], v[215:216], s[16:17], -v[217:218]
	v_add_f64 v[166:167], v[193:194], v[166:167]
	s_delay_alu instid0(VALU_DEP_4) | instskip(SKIP_1) | instid1(VALU_DEP_4)
	v_add_f64 v[164:165], v[164:165], v[31:32]
	v_mul_f64 v[31:32], v[181:182], s[36:37]
	v_add_f64 v[170:171], v[170:171], v[172:173]
	v_fma_f64 v[172:173], v[221:222], s[16:17], v[223:224]
	s_delay_alu instid0(VALU_DEP_3) | instskip(SKIP_1) | instid1(VALU_DEP_3)
	v_fma_f64 v[181:182], v[168:169], s[20:21], -v[31:32]
	v_fma_f64 v[31:32], v[168:169], s[20:21], v[31:32]
	v_add_f64 v[172:173], v[172:173], v[211:212]
	s_delay_alu instid0(VALU_DEP_3) | instskip(SKIP_1) | instid1(VALU_DEP_4)
	v_add_f64 v[162:163], v[181:182], v[162:163]
	v_mul_f64 v[181:182], v[183:184], s[36:37]
	v_add_f64 v[31:32], v[31:32], v[156:157]
	s_delay_alu instid0(VALU_DEP_2) | instskip(SKIP_1) | instid1(VALU_DEP_2)
	v_fma_f64 v[183:184], v[174:175], s[20:21], v[181:182]
	v_fma_f64 v[168:169], v[174:175], s[20:21], -v[181:182]
	v_add_f64 v[160:161], v[183:184], v[160:161]
	v_mul_f64 v[183:184], v[205:206], s[12:13]
	s_delay_alu instid0(VALU_DEP_3) | instskip(NEXT) | instid1(VALU_DEP_2)
	v_add_f64 v[156:157], v[168:169], v[158:159]
	v_fma_f64 v[193:194], v[0:1], s[22:23], -v[183:184]
	v_fma_f64 v[0:1], v[0:1], s[22:23], v[183:184]
	s_delay_alu instid0(VALU_DEP_2) | instskip(SKIP_1) | instid1(VALU_DEP_3)
	v_add_f64 v[162:163], v[193:194], v[162:163]
	v_mul_f64 v[193:194], v[207:208], s[12:13]
	v_add_f64 v[0:1], v[0:1], v[31:32]
	s_delay_alu instid0(VALU_DEP_2) | instskip(SKIP_1) | instid1(VALU_DEP_2)
	v_fma_f64 v[195:196], v[2:3], s[22:23], v[193:194]
	v_fma_f64 v[2:3], v[2:3], s[22:23], -v[193:194]
	v_add_f64 v[160:161], v[195:196], v[160:161]
	v_mul_f64 v[195:196], v[12:13], s[42:43]
	s_delay_alu instid0(VALU_DEP_3) | instskip(NEXT) | instid1(VALU_DEP_2)
	v_add_f64 v[2:3], v[2:3], v[156:157]
	v_fma_f64 v[12:13], v[4:5], s[18:19], -v[195:196]
	v_fma_f64 v[4:5], v[4:5], s[18:19], v[195:196]
	s_delay_alu instid0(VALU_DEP_2) | instskip(SKIP_1) | instid1(VALU_DEP_3)
	v_add_f64 v[12:13], v[12:13], v[162:163]
	v_mul_f64 v[162:163], v[14:15], s[42:43]
	v_add_f64 v[0:1], v[4:5], v[0:1]
	s_delay_alu instid0(VALU_DEP_2) | instskip(SKIP_1) | instid1(VALU_DEP_2)
	v_fma_f64 v[14:15], v[6:7], s[18:19], v[162:163]
	v_fma_f64 v[6:7], v[6:7], s[18:19], -v[162:163]
	v_add_f64 v[14:15], v[14:15], v[160:161]
	v_fma_f64 v[160:161], v[16:17], s[16:17], -v[20:21]
	v_fma_f64 v[16:17], v[16:17], s[16:17], v[20:21]
	s_delay_alu instid0(VALU_DEP_4) | instskip(SKIP_1) | instid1(VALU_DEP_4)
	v_add_f64 v[2:3], v[6:7], v[2:3]
	v_fma_f64 v[6:7], v[221:222], s[8:9], -v[197:198]
	v_add_f64 v[12:13], v[160:161], v[12:13]
	v_fma_f64 v[160:161], v[18:19], s[16:17], v[22:23]
	v_fma_f64 v[18:19], v[18:19], s[16:17], -v[22:23]
	v_add_f64 v[0:1], v[16:17], v[0:1]
	v_and_b32_e32 v16, 0xffff, v29
	s_delay_alu instid0(VALU_DEP_1) | instskip(NEXT) | instid1(VALU_DEP_1)
	v_mul_u32_u24_e32 v16, 0xa9, v16
	v_add_lshl_u32 v40, v16, v30, 4
	v_add_f64 v[14:15], v[160:161], v[14:15]
	v_mul_f64 v[160:161], v[213:214], s[34:35]
	v_add_f64 v[2:3], v[18:19], v[2:3]
	s_delay_alu instid0(VALU_DEP_2) | instskip(NEXT) | instid1(VALU_DEP_2)
	v_fma_f64 v[4:5], v[215:216], s[8:9], v[160:161]
	v_add_f64 v[2:3], v[6:7], v[2:3]
	v_add_f64 v[6:7], v[154:155], v[110:111]
	v_fma_f64 v[199:200], v[215:216], s[8:9], -v[160:161]
	s_delay_alu instid0(VALU_DEP_4) | instskip(SKIP_1) | instid1(VALU_DEP_4)
	v_add_f64 v[0:1], v[4:5], v[0:1]
	v_add_f64 v[4:5], v[152:153], v[108:109]
	;; [unrolled: 1-line block ×3, first 2 shown]
	s_delay_alu instid0(VALU_DEP_4) | instskip(SKIP_1) | instid1(VALU_DEP_4)
	v_add_f64 v[12:13], v[199:200], v[12:13]
	v_fma_f64 v[199:200], v[221:222], s[8:9], v[197:198]
	v_add_f64 v[4:5], v[4:5], v[112:113]
	s_delay_alu instid0(VALU_DEP_4) | instskip(NEXT) | instid1(VALU_DEP_3)
	v_add_f64 v[6:7], v[6:7], v[118:119]
	v_add_f64 v[14:15], v[199:200], v[14:15]
	s_delay_alu instid0(VALU_DEP_3) | instskip(NEXT) | instid1(VALU_DEP_3)
	v_add_f64 v[4:5], v[4:5], v[116:117]
	v_add_f64 v[6:7], v[6:7], v[122:123]
	s_delay_alu instid0(VALU_DEP_2) | instskip(NEXT) | instid1(VALU_DEP_2)
	v_add_f64 v[4:5], v[4:5], v[120:121]
	v_add_f64 v[6:7], v[6:7], v[126:127]
	s_delay_alu instid0(VALU_DEP_2) | instskip(NEXT) | instid1(VALU_DEP_2)
	;; [unrolled: 3-line block ×7, first 2 shown]
	v_add_f64 v[4:5], v[4:5], v[144:145]
	v_add_f64 v[6:7], v[6:7], v[148:149]
	s_delay_alu instid0(VALU_DEP_2)
	v_add_f64 v[4:5], v[4:5], v[150:151]
	ds_store_b128 v40, v[8:11] offset:416
	ds_store_b128 v40, v[36:39] offset:624
	;; [unrolled: 1-line block ×12, first 2 shown]
	ds_store_b128 v40, v[4:7]
	v_mad_u64_u32 v[0:1], null, 0xc0, v33, s[10:11]
	s_waitcnt lgkmcnt(0)
	s_barrier
	buffer_gl0_inv
	s_clause 0x1
	global_load_b128 v[64:67], v[0:1], off offset:2496
	global_load_b128 v[60:63], v[0:1], off offset:2512
	ds_load_b128 v[2:5], v47 offset:2704
	ds_load_b128 v[6:9], v47
	s_waitcnt vmcnt(1) lgkmcnt(1)
	v_mul_f64 v[10:11], v[4:5], v[66:67]
	s_delay_alu instid0(VALU_DEP_1) | instskip(SKIP_1) | instid1(VALU_DEP_1)
	v_fma_f64 v[14:15], v[2:3], v[64:65], -v[10:11]
	v_mul_f64 v[2:3], v[2:3], v[66:67]
	v_fma_f64 v[16:17], v[4:5], v[64:65], v[2:3]
	ds_load_b128 v[2:5], v47 offset:5408
	ds_load_b128 v[10:13], v47 offset:8112
	s_clause 0x1
	global_load_b128 v[120:123], v[0:1], off offset:2528
	global_load_b128 v[108:111], v[0:1], off offset:2544
	s_waitcnt vmcnt(2) lgkmcnt(1)
	v_mul_f64 v[18:19], v[4:5], v[62:63]
	v_add_f64 v[211:212], v[8:9], v[16:17]
	s_delay_alu instid0(VALU_DEP_2) | instskip(SKIP_1) | instid1(VALU_DEP_1)
	v_fma_f64 v[164:165], v[2:3], v[60:61], -v[18:19]
	v_mul_f64 v[2:3], v[2:3], v[62:63]
	v_fma_f64 v[166:167], v[4:5], v[60:61], v[2:3]
	s_waitcnt vmcnt(1) lgkmcnt(0)
	v_mul_f64 v[2:3], v[12:13], v[122:123]
	s_delay_alu instid0(VALU_DEP_1) | instskip(SKIP_1) | instid1(VALU_DEP_1)
	v_fma_f64 v[168:169], v[10:11], v[120:121], -v[2:3]
	v_mul_f64 v[2:3], v[10:11], v[122:123]
	v_fma_f64 v[170:171], v[12:13], v[120:121], v[2:3]
	ds_load_b128 v[2:5], v47 offset:10816
	ds_load_b128 v[10:13], v47 offset:13520
	s_clause 0x1
	global_load_b128 v[128:131], v[0:1], off offset:2560
	global_load_b128 v[112:115], v[0:1], off offset:2576
	s_waitcnt vmcnt(2) lgkmcnt(1)
	v_mul_f64 v[18:19], v[4:5], v[110:111]
	s_delay_alu instid0(VALU_DEP_1) | instskip(SKIP_1) | instid1(VALU_DEP_1)
	v_fma_f64 v[172:173], v[2:3], v[108:109], -v[18:19]
	v_mul_f64 v[2:3], v[2:3], v[110:111]
	v_fma_f64 v[174:175], v[4:5], v[108:109], v[2:3]
	s_waitcnt vmcnt(1) lgkmcnt(0)
	v_mul_f64 v[2:3], v[12:13], v[130:131]
	s_delay_alu instid0(VALU_DEP_1) | instskip(SKIP_1) | instid1(VALU_DEP_1)
	v_fma_f64 v[176:177], v[10:11], v[128:129], -v[2:3]
	v_mul_f64 v[2:3], v[10:11], v[130:131]
	v_fma_f64 v[178:179], v[12:13], v[128:129], v[2:3]
	ds_load_b128 v[2:5], v47 offset:16224
	ds_load_b128 v[10:13], v47 offset:18928
	s_clause 0x1
	global_load_b128 v[132:135], v[0:1], off offset:2592
	global_load_b128 v[116:119], v[0:1], off offset:2608
	s_waitcnt vmcnt(2) lgkmcnt(1)
	v_mul_f64 v[18:19], v[4:5], v[114:115]
	s_delay_alu instid0(VALU_DEP_1) | instskip(SKIP_1) | instid1(VALU_DEP_1)
	;; [unrolled: 17-line block ×3, first 2 shown]
	v_fma_f64 v[189:190], v[2:3], v[116:117], -v[18:19]
	v_mul_f64 v[2:3], v[2:3], v[118:119]
	v_fma_f64 v[191:192], v[4:5], v[116:117], v[2:3]
	s_waitcnt vmcnt(1) lgkmcnt(0)
	v_mul_f64 v[2:3], v[12:13], v[142:143]
	s_delay_alu instid0(VALU_DEP_1) | instskip(SKIP_1) | instid1(VALU_DEP_1)
	v_fma_f64 v[193:194], v[10:11], v[140:141], -v[2:3]
	v_mul_f64 v[2:3], v[10:11], v[142:143]
	v_fma_f64 v[195:196], v[12:13], v[140:141], v[2:3]
	ds_load_b128 v[2:5], v47 offset:27040
	ds_load_b128 v[10:13], v47 offset:29744
	s_clause 0x1
	global_load_b128 v[144:147], v[0:1], off offset:2656
	global_load_b128 v[136:139], v[0:1], off offset:2672
	s_waitcnt vmcnt(2) lgkmcnt(1)
	v_mul_f64 v[18:19], v[4:5], v[126:127]
	s_delay_alu instid0(VALU_DEP_1) | instskip(SKIP_1) | instid1(VALU_DEP_2)
	v_fma_f64 v[197:198], v[2:3], v[124:125], -v[18:19]
	v_mul_f64 v[2:3], v[2:3], v[126:127]
	v_add_f64 v[241:242], v[168:169], v[197:198]
	s_delay_alu instid0(VALU_DEP_2) | instskip(NEXT) | instid1(VALU_DEP_1)
	v_fma_f64 v[199:200], v[4:5], v[124:125], v[2:3]
	v_add_f64 v[253:254], v[170:171], -v[199:200]
	v_add_f64 v[243:244], v[170:171], v[199:200]
	s_waitcnt vmcnt(1) lgkmcnt(0)
	v_mul_f64 v[0:1], v[12:13], v[146:147]
	s_delay_alu instid0(VALU_DEP_1) | instskip(SKIP_1) | instid1(VALU_DEP_2)
	v_fma_f64 v[201:202], v[10:11], v[144:145], -v[0:1]
	v_mul_f64 v[0:1], v[10:11], v[146:147]
	v_add_f64 v[231:232], v[164:165], -v[201:202]
	s_delay_alu instid0(VALU_DEP_2) | instskip(SKIP_3) | instid1(VALU_DEP_1)
	v_fma_f64 v[203:204], v[12:13], v[144:145], v[0:1]
	ds_load_b128 v[0:3], v47 offset:32448
	s_waitcnt vmcnt(0) lgkmcnt(0)
	v_mul_f64 v[4:5], v[0:1], v[138:139]
	v_fma_f64 v[205:206], v[2:3], v[136:137], v[4:5]
	v_mul_f64 v[2:3], v[2:3], v[138:139]
	s_delay_alu instid0(VALU_DEP_2) | instskip(NEXT) | instid1(VALU_DEP_2)
	v_add_f64 v[156:157], v[16:17], v[205:206]
	v_fma_f64 v[207:208], v[0:1], v[136:137], -v[2:3]
	v_add_f64 v[0:1], v[16:17], -v[205:206]
	s_delay_alu instid0(VALU_DEP_2) | instskip(NEXT) | instid1(VALU_DEP_2)
	v_add_f64 v[20:21], v[14:15], v[207:208]
	v_mul_f64 v[2:3], v[0:1], s[26:27]
	v_mul_f64 v[4:5], v[0:1], s[24:25]
	;; [unrolled: 1-line block ×6, first 2 shown]
	v_fma_f64 v[22:23], v[20:21], s[20:21], -v[2:3]
	v_fma_f64 v[2:3], v[20:21], s[20:21], v[2:3]
	v_fma_f64 v[24:25], v[20:21], s[18:19], -v[4:5]
	v_fma_f64 v[4:5], v[20:21], s[18:19], v[4:5]
	;; [unrolled: 2-line block ×6, first 2 shown]
	v_add_f64 v[20:21], v[14:15], -v[207:208]
	v_add_f64 v[14:15], v[6:7], v[14:15]
	v_add_f64 v[209:210], v[6:7], v[10:11]
	;; [unrolled: 1-line block ×3, first 2 shown]
	v_mul_f64 v[30:31], v[231:232], s[24:25]
	v_add_f64 v[235:236], v[6:7], v[38:39]
	v_mul_f64 v[38:39], v[253:254], s[14:15]
	v_add_f64 v[239:240], v[6:7], v[12:13]
	v_add_f64 v[227:228], v[6:7], v[18:19]
	v_mul_f64 v[32:33], v[20:21], s[26:27]
	v_mul_f64 v[36:37], v[20:21], s[24:25]
	;; [unrolled: 1-line block ×6, first 2 shown]
	scratch_store_b64 off, v[14:15], off offset:236 ; 8-byte Folded Spill
	v_add_f64 v[14:15], v[6:7], v[22:23]
	v_add_f64 v[223:224], v[6:7], v[148:149]
	v_add_f64 v[18:19], v[178:179], -v[191:192]
	v_add_f64 v[10:11], v[176:177], -v[189:190]
	v_fma_f64 v[158:159], v[156:157], s[20:21], v[32:33]
	v_fma_f64 v[32:33], v[156:157], s[20:21], -v[32:33]
	v_fma_f64 v[213:214], v[156:157], s[8:9], v[150:151]
	v_fma_f64 v[217:218], v[156:157], s[16:17], -v[152:153]
	v_fma_f64 v[221:222], v[156:157], s[22:23], -v[154:155]
	v_fma_f64 v[229:230], v[156:157], s[28:29], v[20:21]
	v_fma_f64 v[215:216], v[156:157], s[16:17], v[152:153]
	;; [unrolled: 1-line block ×4, first 2 shown]
	v_fma_f64 v[36:37], v[156:157], s[18:19], -v[36:37]
	v_fma_f64 v[150:151], v[156:157], s[8:9], -v[150:151]
	;; [unrolled: 1-line block ×3, first 2 shown]
	v_add_f64 v[156:157], v[6:7], v[24:25]
	v_add_f64 v[24:25], v[168:169], -v[197:198]
	v_add_f64 v[154:155], v[6:7], v[2:3]
	v_mul_f64 v[45:46], v[18:19], s[12:13]
	v_mul_f64 v[34:35], v[10:11], s[12:13]
	v_add_f64 v[16:17], v[8:9], v[158:159]
	v_add_f64 v[152:153], v[8:9], v[32:33]
	;; [unrolled: 1-line block ×6, first 2 shown]
	v_add_f64 v[229:230], v[166:167], -v[203:204]
	v_add_f64 v[217:218], v[164:165], v[201:202]
	v_add_f64 v[233:234], v[8:9], v[219:220]
	;; [unrolled: 1-line block ×8, first 2 shown]
	v_fma_f64 v[4:5], v[241:242], s[8:9], -v[38:39]
	v_mul_f64 v[28:29], v[24:25], s[14:15]
	v_add_f64 v[20:21], v[174:175], -v[195:196]
	v_add_f64 v[162:163], v[8:9], v[36:37]
	v_add_f64 v[36:37], v[6:7], v[26:27]
	;; [unrolled: 1-line block ×4, first 2 shown]
	v_fma_f64 v[38:39], v[241:242], s[8:9], v[38:39]
	v_mul_f64 v[32:33], v[229:230], s[24:25]
	v_fma_f64 v[2:3], v[219:220], s[18:19], v[30:31]
	v_fma_f64 v[30:31], v[219:220], s[18:19], -v[30:31]
	v_mul_f64 v[41:42], v[20:21], s[2:3]
	s_delay_alu instid0(VALU_DEP_4)
	v_fma_f64 v[0:1], v[217:218], s[18:19], -v[32:33]
	v_fma_f64 v[32:33], v[217:218], s[18:19], v[32:33]
	v_add_f64 v[2:3], v[2:3], v[16:17]
	v_add_f64 v[16:17], v[172:173], -v[193:194]
	v_add_f64 v[30:31], v[30:31], v[152:153]
	v_add_f64 v[0:1], v[0:1], v[14:15]
	v_add_f64 v[14:15], v[176:177], v[189:190]
	v_add_f64 v[32:33], v[32:33], v[154:155]
	v_mul_f64 v[12:13], v[16:17], s[2:3]
	s_delay_alu instid0(VALU_DEP_4) | instskip(SKIP_3) | instid1(VALU_DEP_3)
	v_add_f64 v[0:1], v[4:5], v[0:1]
	v_fma_f64 v[4:5], v[243:244], s[8:9], v[28:29]
	v_fma_f64 v[28:29], v[243:244], s[8:9], -v[28:29]
	v_add_f64 v[32:33], v[38:39], v[32:33]
	v_add_f64 v[2:3], v[4:5], v[2:3]
	v_fma_f64 v[4:5], v[6:7], s[16:17], -v[41:42]
	s_delay_alu instid0(VALU_DEP_4) | instskip(SKIP_1) | instid1(VALU_DEP_3)
	v_add_f64 v[28:29], v[28:29], v[30:31]
	v_fma_f64 v[30:31], v[6:7], s[16:17], v[41:42]
	v_add_f64 v[0:1], v[4:5], v[0:1]
	v_add_f64 v[4:5], v[174:175], v[195:196]
	s_delay_alu instid0(VALU_DEP_3) | instskip(NEXT) | instid1(VALU_DEP_2)
	v_add_f64 v[30:31], v[30:31], v[32:33]
	v_fma_f64 v[8:9], v[4:5], s[16:17], v[12:13]
	v_fma_f64 v[12:13], v[4:5], s[16:17], -v[12:13]
	s_delay_alu instid0(VALU_DEP_2) | instskip(SKIP_1) | instid1(VALU_DEP_3)
	v_add_f64 v[8:9], v[8:9], v[2:3]
	v_fma_f64 v[2:3], v[14:15], s[22:23], -v[45:46]
	v_add_f64 v[12:13], v[12:13], v[28:29]
	v_fma_f64 v[28:29], v[14:15], s[22:23], v[45:46]
	s_delay_alu instid0(VALU_DEP_3) | instskip(SKIP_1) | instid1(VALU_DEP_3)
	v_add_f64 v[22:23], v[2:3], v[0:1]
	v_add_f64 v[2:3], v[178:179], v[191:192]
	;; [unrolled: 1-line block ×3, first 2 shown]
	s_delay_alu instid0(VALU_DEP_2) | instskip(SKIP_2) | instid1(VALU_DEP_3)
	v_fma_f64 v[0:1], v[2:3], s[22:23], v[34:35]
	v_fma_f64 v[30:31], v[2:3], s[22:23], -v[34:35]
	v_mul_f64 v[34:35], v[253:254], s[30:31]
	v_add_f64 v[50:51], v[0:1], v[8:9]
	v_add_f64 v[8:9], v[183:184], -v[187:188]
	v_add_f64 v[0:1], v[181:182], v[185:186]
	v_add_f64 v[12:13], v[30:31], v[12:13]
	v_fma_f64 v[38:39], v[241:242], s[28:29], -v[34:35]
	s_delay_alu instid0(VALU_DEP_4) | instskip(NEXT) | instid1(VALU_DEP_1)
	v_mul_f64 v[43:44], v[8:9], s[30:31]
	v_fma_f64 v[26:27], v[0:1], s[28:29], -v[43:44]
	v_fma_f64 v[30:31], v[0:1], s[28:29], v[43:44]
	s_delay_alu instid0(VALU_DEP_2) | instskip(SKIP_2) | instid1(VALU_DEP_4)
	v_add_f64 v[148:149], v[26:27], v[22:23]
	v_add_f64 v[26:27], v[181:182], -v[185:186]
	v_add_f64 v[22:23], v[183:184], v[187:188]
	v_add_f64 v[152:153], v[30:31], v[28:29]
	v_mul_f64 v[30:31], v[231:232], s[2:3]
	s_delay_alu instid0(VALU_DEP_4) | instskip(NEXT) | instid1(VALU_DEP_1)
	v_mul_f64 v[48:49], v[26:27], s[30:31]
	v_fma_f64 v[32:33], v[22:23], s[28:29], -v[48:49]
	v_fma_f64 v[69:70], v[22:23], s[28:29], v[48:49]
	s_delay_alu instid0(VALU_DEP_2) | instskip(SKIP_2) | instid1(VALU_DEP_4)
	v_add_f64 v[154:155], v[32:33], v[12:13]
	v_mul_f64 v[12:13], v[229:230], s[2:3]
	v_fma_f64 v[32:33], v[219:220], s[16:17], v[30:31]
	v_add_f64 v[150:151], v[69:70], v[50:51]
	v_fma_f64 v[30:31], v[219:220], s[16:17], -v[30:31]
	s_delay_alu instid0(VALU_DEP_4) | instskip(NEXT) | instid1(VALU_DEP_4)
	v_fma_f64 v[28:29], v[217:218], s[16:17], -v[12:13]
	v_add_f64 v[32:33], v[32:33], v[158:159]
	v_fma_f64 v[12:13], v[217:218], s[16:17], v[12:13]
	s_delay_alu instid0(VALU_DEP_4) | instskip(NEXT) | instid1(VALU_DEP_4)
	v_add_f64 v[30:31], v[30:31], v[162:163]
	v_add_f64 v[28:29], v[28:29], v[156:157]
	s_delay_alu instid0(VALU_DEP_3) | instskip(NEXT) | instid1(VALU_DEP_2)
	v_add_f64 v[12:13], v[12:13], v[160:161]
	v_add_f64 v[28:29], v[38:39], v[28:29]
	v_mul_f64 v[38:39], v[24:25], s[30:31]
	s_delay_alu instid0(VALU_DEP_1) | instskip(NEXT) | instid1(VALU_DEP_1)
	v_fma_f64 v[41:42], v[243:244], s[28:29], v[38:39]
	v_add_f64 v[32:33], v[41:42], v[32:33]
	v_mul_f64 v[41:42], v[20:21], s[38:39]
	s_delay_alu instid0(VALU_DEP_1) | instskip(NEXT) | instid1(VALU_DEP_1)
	v_fma_f64 v[43:44], v[6:7], s[22:23], -v[41:42]
	v_add_f64 v[28:29], v[43:44], v[28:29]
	v_mul_f64 v[43:44], v[16:17], s[38:39]
	s_delay_alu instid0(VALU_DEP_1) | instskip(NEXT) | instid1(VALU_DEP_1)
	v_fma_f64 v[45:46], v[4:5], s[22:23], v[43:44]
	v_add_f64 v[32:33], v[45:46], v[32:33]
	v_mul_f64 v[45:46], v[18:19], s[34:35]
	s_delay_alu instid0(VALU_DEP_1) | instskip(NEXT) | instid1(VALU_DEP_1)
	v_fma_f64 v[48:49], v[14:15], s[8:9], -v[45:46]
	;; [unrolled: 8-line block ×3, first 2 shown]
	v_add_f64 v[156:157], v[69:70], v[28:29]
	v_mul_f64 v[28:29], v[26:27], s[36:37]
	s_delay_alu instid0(VALU_DEP_1) | instskip(SKIP_1) | instid1(VALU_DEP_2)
	v_fma_f64 v[69:70], v[22:23], s[20:21], v[28:29]
	v_fma_f64 v[28:29], v[22:23], s[20:21], -v[28:29]
	v_add_f64 v[158:159], v[69:70], v[32:33]
	v_fma_f64 v[32:33], v[241:242], s[28:29], v[34:35]
	v_mul_f64 v[34:35], v[231:232], s[30:31]
	s_delay_alu instid0(VALU_DEP_2) | instskip(SKIP_2) | instid1(VALU_DEP_2)
	v_add_f64 v[12:13], v[32:33], v[12:13]
	v_fma_f64 v[32:33], v[243:244], s[28:29], -v[38:39]
	v_mul_f64 v[38:39], v[24:25], s[40:41]
	v_add_f64 v[30:31], v[32:33], v[30:31]
	v_fma_f64 v[32:33], v[6:7], s[22:23], v[41:42]
	v_mul_f64 v[41:42], v[20:21], s[36:37]
	s_delay_alu instid0(VALU_DEP_2) | instskip(SKIP_2) | instid1(VALU_DEP_2)
	v_add_f64 v[12:13], v[32:33], v[12:13]
	v_fma_f64 v[32:33], v[4:5], s[22:23], -v[43:44]
	v_mul_f64 v[43:44], v[16:17], s[36:37]
	;; [unrolled: 7-line block ×3, first 2 shown]
	v_add_f64 v[30:31], v[32:33], v[30:31]
	v_fma_f64 v[32:33], v[0:1], s[20:21], v[50:51]
	v_mul_f64 v[50:51], v[8:9], s[12:13]
	s_delay_alu instid0(VALU_DEP_3) | instskip(NEXT) | instid1(VALU_DEP_3)
	v_add_f64 v[162:163], v[28:29], v[30:31]
	v_add_f64 v[160:161], v[32:33], v[12:13]
	v_mul_f64 v[12:13], v[229:230], s[30:31]
	v_fma_f64 v[30:31], v[219:220], s[28:29], v[34:35]
	v_fma_f64 v[34:35], v[219:220], s[28:29], -v[34:35]
	s_delay_alu instid0(VALU_DEP_3) | instskip(SKIP_1) | instid1(VALU_DEP_4)
	v_fma_f64 v[28:29], v[217:218], s[28:29], -v[12:13]
	v_fma_f64 v[12:13], v[217:218], s[28:29], v[12:13]
	v_add_f64 v[30:31], v[30:31], v[52:53]
	s_delay_alu instid0(VALU_DEP_4) | instskip(NEXT) | instid1(VALU_DEP_4)
	v_add_f64 v[34:35], v[34:35], v[58:59]
	v_add_f64 v[28:29], v[28:29], v[36:37]
	v_mul_f64 v[36:37], v[253:254], s[40:41]
	v_add_f64 v[12:13], v[12:13], v[209:210]
	s_delay_alu instid0(VALU_DEP_2) | instskip(SKIP_1) | instid1(VALU_DEP_2)
	v_fma_f64 v[32:33], v[241:242], s[16:17], -v[36:37]
	v_fma_f64 v[36:37], v[241:242], s[16:17], v[36:37]
	v_add_f64 v[28:29], v[32:33], v[28:29]
	v_fma_f64 v[32:33], v[243:244], s[16:17], v[38:39]
	s_delay_alu instid0(VALU_DEP_3) | instskip(SKIP_1) | instid1(VALU_DEP_3)
	v_add_f64 v[12:13], v[36:37], v[12:13]
	v_fma_f64 v[36:37], v[243:244], s[16:17], -v[38:39]
	v_add_f64 v[30:31], v[32:33], v[30:31]
	v_fma_f64 v[32:33], v[6:7], s[20:21], -v[41:42]
	s_delay_alu instid0(VALU_DEP_3) | instskip(SKIP_1) | instid1(VALU_DEP_3)
	v_add_f64 v[34:35], v[36:37], v[34:35]
	v_fma_f64 v[36:37], v[6:7], s[20:21], v[41:42]
	v_add_f64 v[28:29], v[32:33], v[28:29]
	v_fma_f64 v[32:33], v[4:5], s[20:21], v[43:44]
	s_delay_alu instid0(VALU_DEP_3) | instskip(SKIP_2) | instid1(VALU_DEP_4)
	v_add_f64 v[12:13], v[36:37], v[12:13]
	v_fma_f64 v[36:37], v[4:5], s[20:21], -v[43:44]
	v_mul_f64 v[43:44], v[253:254], s[36:37]
	v_add_f64 v[30:31], v[32:33], v[30:31]
	v_fma_f64 v[32:33], v[14:15], s[18:19], -v[45:46]
	s_delay_alu instid0(VALU_DEP_4) | instskip(SKIP_2) | instid1(VALU_DEP_4)
	v_add_f64 v[34:35], v[36:37], v[34:35]
	v_fma_f64 v[36:37], v[14:15], s[18:19], v[45:46]
	v_fma_f64 v[45:46], v[241:242], s[20:21], -v[43:44]
	v_add_f64 v[28:29], v[32:33], v[28:29]
	v_fma_f64 v[32:33], v[2:3], s[18:19], v[48:49]
	s_delay_alu instid0(VALU_DEP_4) | instskip(SKIP_1) | instid1(VALU_DEP_3)
	v_add_f64 v[12:13], v[36:37], v[12:13]
	v_fma_f64 v[36:37], v[2:3], s[18:19], -v[48:49]
	v_add_f64 v[32:33], v[32:33], v[30:31]
	v_fma_f64 v[30:31], v[0:1], s[22:23], -v[50:51]
	s_delay_alu instid0(VALU_DEP_3) | instskip(SKIP_1) | instid1(VALU_DEP_3)
	v_add_f64 v[34:35], v[36:37], v[34:35]
	v_fma_f64 v[36:37], v[0:1], s[22:23], v[50:51]
	v_add_f64 v[30:31], v[30:31], v[28:29]
	v_mul_f64 v[28:29], v[26:27], s[12:13]
	s_delay_alu instid0(VALU_DEP_3) | instskip(SKIP_1) | instid1(VALU_DEP_3)
	v_add_f64 v[36:37], v[36:37], v[12:13]
	v_mul_f64 v[12:13], v[229:230], s[38:39]
	v_fma_f64 v[52:53], v[22:23], s[22:23], v[28:29]
	v_fma_f64 v[28:29], v[22:23], s[22:23], -v[28:29]
	s_delay_alu instid0(VALU_DEP_2) | instskip(NEXT) | instid1(VALU_DEP_2)
	v_add_f64 v[32:33], v[52:53], v[32:33]
	v_add_f64 v[38:39], v[28:29], v[34:35]
	v_fma_f64 v[28:29], v[217:218], s[22:23], -v[12:13]
	v_mul_f64 v[34:35], v[231:232], s[38:39]
	v_fma_f64 v[12:13], v[217:218], s[22:23], v[12:13]
	s_delay_alu instid0(VALU_DEP_3) | instskip(NEXT) | instid1(VALU_DEP_3)
	v_add_f64 v[28:29], v[28:29], v[247:248]
	v_fma_f64 v[41:42], v[219:220], s[22:23], v[34:35]
	s_delay_alu instid0(VALU_DEP_3) | instskip(SKIP_1) | instid1(VALU_DEP_4)
	v_add_f64 v[12:13], v[12:13], v[239:240]
	v_fma_f64 v[34:35], v[219:220], s[22:23], -v[34:35]
	v_add_f64 v[28:29], v[45:46], v[28:29]
	v_mul_f64 v[45:46], v[24:25], s[36:37]
	v_add_f64 v[41:42], v[41:42], v[245:246]
	s_delay_alu instid0(VALU_DEP_4) | instskip(NEXT) | instid1(VALU_DEP_3)
	v_add_f64 v[34:35], v[34:35], v[237:238]
	v_fma_f64 v[48:49], v[243:244], s[20:21], v[45:46]
	s_delay_alu instid0(VALU_DEP_1) | instskip(SKIP_1) | instid1(VALU_DEP_1)
	v_add_f64 v[41:42], v[48:49], v[41:42]
	v_mul_f64 v[48:49], v[20:21], s[14:15]
	v_fma_f64 v[50:51], v[6:7], s[8:9], -v[48:49]
	s_delay_alu instid0(VALU_DEP_1) | instskip(SKIP_1) | instid1(VALU_DEP_1)
	v_add_f64 v[28:29], v[50:51], v[28:29]
	v_mul_f64 v[50:51], v[16:17], s[14:15]
	v_fma_f64 v[52:53], v[4:5], s[8:9], v[50:51]
	s_delay_alu instid0(VALU_DEP_1) | instskip(SKIP_1) | instid1(VALU_DEP_1)
	v_add_f64 v[41:42], v[52:53], v[41:42]
	v_mul_f64 v[52:53], v[18:19], s[44:45]
	v_fma_f64 v[58:59], v[14:15], s[28:29], -v[52:53]
	s_delay_alu instid0(VALU_DEP_1) | instskip(SKIP_1) | instid1(VALU_DEP_1)
	v_add_f64 v[28:29], v[58:59], v[28:29]
	v_mul_f64 v[58:59], v[10:11], s[44:45]
	;; [unrolled: 8-line block ×3, first 2 shown]
	v_fma_f64 v[209:210], v[22:23], s[18:19], v[28:29]
	v_fma_f64 v[28:29], v[22:23], s[18:19], -v[28:29]
	s_delay_alu instid0(VALU_DEP_2) | instskip(SKIP_2) | instid1(VALU_DEP_2)
	v_add_f64 v[247:248], v[209:210], v[41:42]
	v_fma_f64 v[41:42], v[241:242], s[20:21], v[43:44]
	v_mul_f64 v[43:44], v[253:254], s[24:25]
	v_add_f64 v[12:13], v[41:42], v[12:13]
	v_fma_f64 v[41:42], v[243:244], s[20:21], -v[45:46]
	s_delay_alu instid0(VALU_DEP_3) | instskip(NEXT) | instid1(VALU_DEP_2)
	v_fma_f64 v[45:46], v[241:242], s[18:19], -v[43:44]
	v_add_f64 v[34:35], v[41:42], v[34:35]
	v_fma_f64 v[41:42], v[6:7], s[8:9], v[48:49]
	s_delay_alu instid0(VALU_DEP_1) | instskip(SKIP_1) | instid1(VALU_DEP_1)
	v_add_f64 v[12:13], v[41:42], v[12:13]
	v_fma_f64 v[41:42], v[4:5], s[8:9], -v[50:51]
	v_add_f64 v[34:35], v[41:42], v[34:35]
	v_fma_f64 v[41:42], v[14:15], s[28:29], v[52:53]
	s_delay_alu instid0(VALU_DEP_1) | instskip(SKIP_1) | instid1(VALU_DEP_1)
	v_add_f64 v[12:13], v[41:42], v[12:13]
	v_fma_f64 v[41:42], v[2:3], s[28:29], -v[58:59]
	v_add_f64 v[34:35], v[41:42], v[34:35]
	v_fma_f64 v[41:42], v[0:1], s[18:19], v[69:70]
	s_delay_alu instid0(VALU_DEP_2) | instskip(NEXT) | instid1(VALU_DEP_2)
	v_add_f64 v[239:240], v[28:29], v[34:35]
	v_add_f64 v[237:238], v[41:42], v[12:13]
	v_mul_f64 v[12:13], v[229:230], s[34:35]
	v_mul_f64 v[34:35], v[231:232], s[34:35]
	s_delay_alu instid0(VALU_DEP_2) | instskip(NEXT) | instid1(VALU_DEP_2)
	v_fma_f64 v[28:29], v[217:218], s[8:9], -v[12:13]
	v_fma_f64 v[41:42], v[219:220], s[8:9], v[34:35]
	v_fma_f64 v[12:13], v[217:218], s[8:9], v[12:13]
	v_fma_f64 v[34:35], v[219:220], s[8:9], -v[34:35]
	s_delay_alu instid0(VALU_DEP_4) | instskip(NEXT) | instid1(VALU_DEP_4)
	v_add_f64 v[28:29], v[28:29], v[235:236]
	v_add_f64 v[41:42], v[41:42], v[233:234]
	s_delay_alu instid0(VALU_DEP_4) | instskip(NEXT) | instid1(VALU_DEP_4)
	v_add_f64 v[12:13], v[12:13], v[227:228]
	v_add_f64 v[34:35], v[34:35], v[225:226]
	s_delay_alu instid0(VALU_DEP_4) | instskip(SKIP_2) | instid1(VALU_DEP_2)
	v_add_f64 v[28:29], v[45:46], v[28:29]
	v_mul_f64 v[45:46], v[24:25], s[24:25]
	v_mul_f64 v[24:25], v[24:25], s[12:13]
	v_fma_f64 v[48:49], v[243:244], s[18:19], v[45:46]
	s_delay_alu instid0(VALU_DEP_1) | instskip(SKIP_2) | instid1(VALU_DEP_2)
	v_add_f64 v[41:42], v[48:49], v[41:42]
	v_mul_f64 v[48:49], v[20:21], s[44:45]
	v_mul_f64 v[20:21], v[20:21], s[42:43]
	v_fma_f64 v[50:51], v[6:7], s[28:29], -v[48:49]
	s_delay_alu instid0(VALU_DEP_1) | instskip(SKIP_2) | instid1(VALU_DEP_2)
	v_add_f64 v[28:29], v[50:51], v[28:29]
	v_mul_f64 v[50:51], v[16:17], s[44:45]
	v_mul_f64 v[16:17], v[16:17], s[42:43]
	v_fma_f64 v[52:53], v[4:5], s[28:29], v[50:51]
	s_delay_alu instid0(VALU_DEP_1) | instskip(SKIP_2) | instid1(VALU_DEP_2)
	v_add_f64 v[41:42], v[52:53], v[41:42]
	v_mul_f64 v[52:53], v[18:19], s[36:37]
	v_mul_f64 v[18:19], v[18:19], s[2:3]
	v_fma_f64 v[58:59], v[14:15], s[20:21], -v[52:53]
	s_delay_alu instid0(VALU_DEP_1) | instskip(SKIP_1) | instid1(VALU_DEP_1)
	v_add_f64 v[28:29], v[58:59], v[28:29]
	v_mul_f64 v[58:59], v[10:11], s[36:37]
	v_fma_f64 v[69:70], v[2:3], s[20:21], v[58:59]
	s_delay_alu instid0(VALU_DEP_1) | instskip(SKIP_1) | instid1(VALU_DEP_1)
	v_add_f64 v[41:42], v[69:70], v[41:42]
	v_mul_f64 v[69:70], v[8:9], s[2:3]
	v_fma_f64 v[209:210], v[0:1], s[16:17], -v[69:70]
	s_delay_alu instid0(VALU_DEP_1) | instskip(SKIP_2) | instid1(VALU_DEP_2)
	v_add_f64 v[233:234], v[209:210], v[28:29]
	v_mul_f64 v[28:29], v[26:27], s[2:3]
	v_mul_f64 v[26:27], v[26:27], s[34:35]
	v_fma_f64 v[209:210], v[22:23], s[16:17], v[28:29]
	v_fma_f64 v[28:29], v[22:23], s[16:17], -v[28:29]
	s_delay_alu instid0(VALU_DEP_2) | instskip(SKIP_2) | instid1(VALU_DEP_2)
	v_add_f64 v[235:236], v[209:210], v[41:42]
	v_fma_f64 v[41:42], v[241:242], s[18:19], v[43:44]
	v_mul_f64 v[43:44], v[253:254], s[12:13]
	v_add_f64 v[12:13], v[41:42], v[12:13]
	v_fma_f64 v[41:42], v[243:244], s[18:19], -v[45:46]
	s_delay_alu instid0(VALU_DEP_3) | instskip(NEXT) | instid1(VALU_DEP_2)
	v_fma_f64 v[45:46], v[241:242], s[22:23], -v[43:44]
	v_add_f64 v[34:35], v[41:42], v[34:35]
	v_fma_f64 v[41:42], v[6:7], s[28:29], v[48:49]
	s_delay_alu instid0(VALU_DEP_1) | instskip(SKIP_1) | instid1(VALU_DEP_1)
	v_add_f64 v[12:13], v[41:42], v[12:13]
	v_fma_f64 v[41:42], v[4:5], s[28:29], -v[50:51]
	v_add_f64 v[34:35], v[41:42], v[34:35]
	v_fma_f64 v[41:42], v[14:15], s[20:21], v[52:53]
	s_delay_alu instid0(VALU_DEP_1) | instskip(SKIP_1) | instid1(VALU_DEP_1)
	v_add_f64 v[12:13], v[41:42], v[12:13]
	v_fma_f64 v[41:42], v[2:3], s[20:21], -v[58:59]
	v_add_f64 v[34:35], v[41:42], v[34:35]
	v_fma_f64 v[41:42], v[0:1], s[16:17], v[69:70]
	s_delay_alu instid0(VALU_DEP_2) | instskip(NEXT) | instid1(VALU_DEP_2)
	v_add_f64 v[227:228], v[28:29], v[34:35]
	v_add_f64 v[225:226], v[41:42], v[12:13]
	v_mul_f64 v[12:13], v[229:230], s[36:37]
	v_mul_f64 v[34:35], v[231:232], s[36:37]
	s_delay_alu instid0(VALU_DEP_2) | instskip(NEXT) | instid1(VALU_DEP_2)
	v_fma_f64 v[28:29], v[217:218], s[20:21], -v[12:13]
	v_fma_f64 v[41:42], v[219:220], s[20:21], v[34:35]
	v_fma_f64 v[12:13], v[217:218], s[20:21], v[12:13]
	s_delay_alu instid0(VALU_DEP_3) | instskip(NEXT) | instid1(VALU_DEP_3)
	v_add_f64 v[28:29], v[28:29], v[223:224]
	v_add_f64 v[41:42], v[41:42], v[221:222]
	s_delay_alu instid0(VALU_DEP_3) | instskip(NEXT) | instid1(VALU_DEP_3)
	v_add_f64 v[12:13], v[12:13], v[213:214]
	v_add_f64 v[28:29], v[45:46], v[28:29]
	v_fma_f64 v[45:46], v[243:244], s[22:23], v[24:25]
	v_fma_f64 v[24:25], v[243:244], s[22:23], -v[24:25]
	s_delay_alu instid0(VALU_DEP_2) | instskip(SKIP_2) | instid1(VALU_DEP_2)
	v_add_f64 v[41:42], v[45:46], v[41:42]
	v_fma_f64 v[45:46], v[6:7], s[18:19], -v[20:21]
	v_fma_f64 v[6:7], v[6:7], s[18:19], v[20:21]
	v_add_f64 v[28:29], v[45:46], v[28:29]
	v_fma_f64 v[45:46], v[4:5], s[18:19], v[16:17]
	v_fma_f64 v[4:5], v[4:5], s[18:19], -v[16:17]
	s_delay_alu instid0(VALU_DEP_2) | instskip(SKIP_2) | instid1(VALU_DEP_2)
	v_add_f64 v[41:42], v[45:46], v[41:42]
	v_fma_f64 v[45:46], v[14:15], s[16:17], -v[18:19]
	v_fma_f64 v[14:15], v[14:15], s[16:17], v[18:19]
	v_add_f64 v[28:29], v[45:46], v[28:29]
	v_mul_f64 v[45:46], v[10:11], s[2:3]
	s_delay_alu instid0(VALU_DEP_1) | instskip(SKIP_1) | instid1(VALU_DEP_2)
	v_fma_f64 v[10:11], v[2:3], s[16:17], v[45:46]
	v_fma_f64 v[2:3], v[2:3], s[16:17], -v[45:46]
	v_add_f64 v[10:11], v[10:11], v[41:42]
	v_mul_f64 v[41:42], v[8:9], s[34:35]
	s_delay_alu instid0(VALU_DEP_1) | instskip(SKIP_1) | instid1(VALU_DEP_2)
	v_fma_f64 v[8:9], v[0:1], s[8:9], -v[41:42]
	v_fma_f64 v[0:1], v[0:1], s[8:9], v[41:42]
	v_add_f64 v[8:9], v[8:9], v[28:29]
	v_fma_f64 v[28:29], v[22:23], s[8:9], v[26:27]
	s_delay_alu instid0(VALU_DEP_1) | instskip(SKIP_2) | instid1(VALU_DEP_2)
	v_add_f64 v[10:11], v[28:29], v[10:11]
	v_fma_f64 v[28:29], v[219:220], s[20:21], -v[34:35]
	v_fma_f64 v[34:35], v[241:242], s[22:23], v[43:44]
	v_add_f64 v[28:29], v[28:29], v[215:216]
	s_delay_alu instid0(VALU_DEP_2) | instskip(NEXT) | instid1(VALU_DEP_2)
	v_add_f64 v[12:13], v[34:35], v[12:13]
	v_add_f64 v[16:17], v[24:25], v[28:29]
	s_delay_alu instid0(VALU_DEP_2) | instskip(SKIP_1) | instid1(VALU_DEP_3)
	v_add_f64 v[6:7], v[6:7], v[12:13]
	v_fma_f64 v[12:13], v[22:23], s[8:9], -v[26:27]
	v_add_f64 v[4:5], v[4:5], v[16:17]
	s_delay_alu instid0(VALU_DEP_3) | instskip(NEXT) | instid1(VALU_DEP_2)
	v_add_f64 v[6:7], v[14:15], v[6:7]
	v_add_f64 v[2:3], v[2:3], v[4:5]
	scratch_load_b64 v[4:5], off, off offset:236 ; 8-byte Folded Reload
	v_add_f64 v[0:1], v[0:1], v[6:7]
	v_add_f64 v[6:7], v[211:212], v[166:167]
	v_add_f64 v[2:3], v[12:13], v[2:3]
	s_delay_alu instid0(VALU_DEP_2) | instskip(NEXT) | instid1(VALU_DEP_1)
	v_add_f64 v[6:7], v[6:7], v[170:171]
	v_add_f64 v[6:7], v[6:7], v[174:175]
	s_delay_alu instid0(VALU_DEP_1) | instskip(NEXT) | instid1(VALU_DEP_1)
	v_add_f64 v[6:7], v[6:7], v[178:179]
	v_add_f64 v[6:7], v[6:7], v[183:184]
	s_delay_alu instid0(VALU_DEP_1) | instskip(NEXT) | instid1(VALU_DEP_1)
	;; [unrolled: 3-line block ×3, first 2 shown]
	v_add_f64 v[6:7], v[6:7], v[195:196]
	v_add_f64 v[6:7], v[6:7], v[199:200]
	s_waitcnt vmcnt(0)
	v_add_f64 v[4:5], v[4:5], v[164:165]
	s_delay_alu instid0(VALU_DEP_2) | instskip(NEXT) | instid1(VALU_DEP_2)
	v_add_f64 v[6:7], v[6:7], v[203:204]
	v_add_f64 v[4:5], v[4:5], v[168:169]
	s_delay_alu instid0(VALU_DEP_2) | instskip(NEXT) | instid1(VALU_DEP_2)
	v_add_f64 v[6:7], v[6:7], v[205:206]
	v_add_f64 v[4:5], v[4:5], v[172:173]
	s_delay_alu instid0(VALU_DEP_1) | instskip(NEXT) | instid1(VALU_DEP_1)
	v_add_f64 v[4:5], v[4:5], v[176:177]
	v_add_f64 v[4:5], v[4:5], v[181:182]
	s_delay_alu instid0(VALU_DEP_1) | instskip(NEXT) | instid1(VALU_DEP_1)
	;; [unrolled: 3-line block ×4, first 2 shown]
	v_add_f64 v[4:5], v[4:5], v[201:202]
	v_add_f64 v[4:5], v[4:5], v[207:208]
	ds_store_b128 v47, v[156:159] offset:5408
	ds_store_b128 v47, v[30:33] offset:8112
	ds_store_b128 v47, v[245:248] offset:10816
	ds_store_b128 v47, v[233:236] offset:13520
	ds_store_b128 v47, v[8:11] offset:16224
	ds_store_b128 v47, v[0:3] offset:18928
	ds_store_b128 v47, v[225:228] offset:21632
	ds_store_b128 v47, v[237:240] offset:24336
	ds_store_b128 v47, v[36:39] offset:27040
	ds_store_b128 v47, v[160:163] offset:29744
	ds_store_b128 v47, v[152:155] offset:32448
	ds_store_b128 v47, v[148:151] offset:2704
	ds_store_b128 v47, v[4:7]
	v_add_co_u32 v0, vcc_lo, 0x8000, v255
	v_add_co_ci_u32_e32 v1, vcc_lo, 0, v180, vcc_lo
	v_add_co_u32 v4, vcc_lo, 0x8950, v255
	v_add_co_ci_u32_e32 v5, vcc_lo, 0, v180, vcc_lo
	s_waitcnt lgkmcnt(0)
	s_waitcnt_vscnt null, 0x0
	s_barrier
	buffer_gl0_inv
	s_clause 0x1
	global_load_b128 v[0:3], v[0:1], off offset:2384
	global_load_b128 v[4:7], v[4:5], off offset:2704
	ds_load_b128 v[8:11], v47
	ds_load_b128 v[12:15], v47 offset:2704
	s_waitcnt vmcnt(1) lgkmcnt(1)
	v_mul_f64 v[16:17], v[10:11], v[2:3]
	v_mul_f64 v[2:3], v[8:9], v[2:3]
	s_delay_alu instid0(VALU_DEP_2) | instskip(NEXT) | instid1(VALU_DEP_2)
	v_fma_f64 v[148:149], v[8:9], v[0:1], -v[16:17]
	v_fma_f64 v[150:151], v[10:11], v[0:1], v[2:3]
	s_waitcnt vmcnt(0) lgkmcnt(0)
	v_mul_f64 v[0:1], v[14:15], v[6:7]
	v_mul_f64 v[2:3], v[12:13], v[6:7]
	s_delay_alu instid0(VALU_DEP_2) | instskip(SKIP_2) | instid1(VALU_DEP_4)
	v_fma_f64 v[152:153], v[12:13], v[4:5], -v[0:1]
	v_add_co_u32 v0, vcc_lo, 0x9000, v255
	v_add_co_ci_u32_e32 v1, vcc_lo, 0, v180, vcc_lo
	v_fma_f64 v[154:155], v[14:15], v[4:5], v[2:3]
	v_add_co_u32 v4, vcc_lo, 0xa000, v255
	v_add_co_ci_u32_e32 v5, vcc_lo, 0, v180, vcc_lo
	s_clause 0x1
	global_load_b128 v[0:3], v[0:1], off offset:3696
	global_load_b128 v[4:7], v[4:5], off offset:2304
	ds_load_b128 v[8:11], v47 offset:5408
	ds_load_b128 v[12:15], v47 offset:8112
	s_waitcnt vmcnt(1) lgkmcnt(1)
	v_mul_f64 v[16:17], v[10:11], v[2:3]
	v_mul_f64 v[2:3], v[8:9], v[2:3]
	s_delay_alu instid0(VALU_DEP_2) | instskip(NEXT) | instid1(VALU_DEP_2)
	v_fma_f64 v[8:9], v[8:9], v[0:1], -v[16:17]
	v_fma_f64 v[10:11], v[10:11], v[0:1], v[2:3]
	s_waitcnt vmcnt(0) lgkmcnt(0)
	v_mul_f64 v[0:1], v[14:15], v[6:7]
	v_mul_f64 v[2:3], v[12:13], v[6:7]
	s_delay_alu instid0(VALU_DEP_2) | instskip(SKIP_2) | instid1(VALU_DEP_4)
	v_fma_f64 v[0:1], v[12:13], v[4:5], -v[0:1]
	v_add_co_u32 v12, vcc_lo, 0xb000, v255
	v_add_co_ci_u32_e32 v13, vcc_lo, 0, v180, vcc_lo
	v_fma_f64 v[2:3], v[14:15], v[4:5], v[2:3]
	s_clause 0x1
	global_load_b128 v[4:7], v[12:13], off offset:912
	global_load_b128 v[12:15], v[12:13], off offset:3616
	ds_load_b128 v[16:19], v47 offset:10816
	ds_load_b128 v[20:23], v47 offset:13520
	s_waitcnt vmcnt(1) lgkmcnt(1)
	v_mul_f64 v[24:25], v[18:19], v[6:7]
	v_mul_f64 v[6:7], v[16:17], v[6:7]
	s_delay_alu instid0(VALU_DEP_2) | instskip(NEXT) | instid1(VALU_DEP_2)
	v_fma_f64 v[16:17], v[16:17], v[4:5], -v[24:25]
	v_fma_f64 v[18:19], v[18:19], v[4:5], v[6:7]
	s_waitcnt vmcnt(0) lgkmcnt(0)
	v_mul_f64 v[4:5], v[22:23], v[14:15]
	v_mul_f64 v[6:7], v[20:21], v[14:15]
	s_delay_alu instid0(VALU_DEP_2) | instskip(NEXT) | instid1(VALU_DEP_2)
	v_fma_f64 v[4:5], v[20:21], v[12:13], -v[4:5]
	v_fma_f64 v[6:7], v[22:23], v[12:13], v[6:7]
	v_add_co_u32 v12, vcc_lo, 0xc000, v255
	v_add_co_ci_u32_e32 v13, vcc_lo, 0, v180, vcc_lo
	v_add_co_u32 v28, vcc_lo, 0xd000, v255
	v_add_co_ci_u32_e32 v29, vcc_lo, 0, v180, vcc_lo
	s_clause 0x1
	global_load_b128 v[12:15], v[12:13], off offset:2224
	global_load_b128 v[20:23], v[28:29], off offset:832
	ds_load_b128 v[24:27], v47 offset:16224
	ds_load_b128 v[30:33], v47 offset:18928
	s_waitcnt vmcnt(1) lgkmcnt(1)
	v_mul_f64 v[34:35], v[26:27], v[14:15]
	v_mul_f64 v[14:15], v[24:25], v[14:15]
	s_delay_alu instid0(VALU_DEP_2) | instskip(NEXT) | instid1(VALU_DEP_2)
	v_fma_f64 v[24:25], v[24:25], v[12:13], -v[34:35]
	v_fma_f64 v[26:27], v[26:27], v[12:13], v[14:15]
	s_waitcnt vmcnt(0) lgkmcnt(0)
	v_mul_f64 v[12:13], v[32:33], v[22:23]
	v_mul_f64 v[14:15], v[30:31], v[22:23]
	s_delay_alu instid0(VALU_DEP_2) | instskip(SKIP_2) | instid1(VALU_DEP_4)
	v_fma_f64 v[12:13], v[30:31], v[20:21], -v[12:13]
	v_add_co_u32 v30, vcc_lo, 0xe000, v255
	v_add_co_ci_u32_e32 v31, vcc_lo, 0, v180, vcc_lo
	v_fma_f64 v[14:15], v[32:33], v[20:21], v[14:15]
	s_clause 0x1
	global_load_b128 v[20:23], v[28:29], off offset:3536
	global_load_b128 v[30:33], v[30:31], off offset:2144
	ds_load_b128 v[36:39], v47 offset:21632
	ds_load_b128 v[156:159], v47 offset:24336
	s_waitcnt vmcnt(1) lgkmcnt(1)
	v_mul_f64 v[28:29], v[38:39], v[22:23]
	v_mul_f64 v[22:23], v[36:37], v[22:23]
	s_delay_alu instid0(VALU_DEP_2) | instskip(NEXT) | instid1(VALU_DEP_2)
	v_fma_f64 v[36:37], v[36:37], v[20:21], -v[28:29]
	v_fma_f64 v[38:39], v[38:39], v[20:21], v[22:23]
	s_waitcnt vmcnt(0) lgkmcnt(0)
	v_mul_f64 v[20:21], v[158:159], v[32:33]
	v_mul_f64 v[22:23], v[156:157], v[32:33]
	v_add_co_u32 v28, vcc_lo, 0xf000, v255
	v_add_co_ci_u32_e32 v29, vcc_lo, 0, v180, vcc_lo
	s_delay_alu instid0(VALU_DEP_4) | instskip(NEXT) | instid1(VALU_DEP_4)
	v_fma_f64 v[20:21], v[156:157], v[30:31], -v[20:21]
	v_fma_f64 v[22:23], v[158:159], v[30:31], v[22:23]
	s_clause 0x1
	global_load_b128 v[30:33], v[28:29], off offset:752
	global_load_b128 v[156:159], v[28:29], off offset:3456
	ds_load_b128 v[160:163], v47 offset:27040
	ds_load_b128 v[164:167], v47 offset:29744
	s_waitcnt vmcnt(1) lgkmcnt(1)
	v_mul_f64 v[28:29], v[162:163], v[32:33]
	v_mul_f64 v[32:33], v[160:161], v[32:33]
	s_delay_alu instid0(VALU_DEP_2) | instskip(SKIP_2) | instid1(VALU_DEP_3)
	v_fma_f64 v[160:161], v[160:161], v[30:31], -v[28:29]
	s_waitcnt vmcnt(0) lgkmcnt(0)
	v_mul_f64 v[28:29], v[166:167], v[158:159]
	v_fma_f64 v[162:163], v[162:163], v[30:31], v[32:33]
	v_mul_f64 v[32:33], v[164:165], v[158:159]
	s_delay_alu instid0(VALU_DEP_3) | instskip(SKIP_2) | instid1(VALU_DEP_4)
	v_fma_f64 v[30:31], v[164:165], v[156:157], -v[28:29]
	v_add_co_u32 v28, vcc_lo, 0x10000, v255
	v_add_co_ci_u32_e32 v29, vcc_lo, 0, v180, vcc_lo
	v_fma_f64 v[32:33], v[166:167], v[156:157], v[32:33]
	ds_load_b128 v[164:167], v47 offset:32448
	global_load_b128 v[156:159], v[28:29], off offset:2064
	s_waitcnt vmcnt(0) lgkmcnt(0)
	v_mul_f64 v[28:29], v[166:167], v[158:159]
	v_mul_f64 v[34:35], v[164:165], v[158:159]
	s_delay_alu instid0(VALU_DEP_2) | instskip(NEXT) | instid1(VALU_DEP_2)
	v_fma_f64 v[164:165], v[164:165], v[156:157], -v[28:29]
	v_fma_f64 v[166:167], v[166:167], v[156:157], v[34:35]
	ds_store_b128 v47, v[148:151]
	ds_store_b128 v47, v[152:155] offset:2704
	ds_store_b128 v47, v[8:11] offset:5408
	;; [unrolled: 1-line block ×12, first 2 shown]
	s_waitcnt lgkmcnt(0)
	s_barrier
	buffer_gl0_inv
	ds_load_b128 v[148:151], v47
	ds_load_b128 v[152:155], v47 offset:2704
	ds_load_b128 v[156:159], v47 offset:5408
	;; [unrolled: 1-line block ×7, first 2 shown]
	s_waitcnt lgkmcnt(6)
	v_add_f64 v[0:1], v[148:149], v[152:153]
	v_add_f64 v[2:3], v[150:151], v[154:155]
	s_waitcnt lgkmcnt(0)
	v_add_f64 v[181:182], v[174:175], v[178:179]
	s_delay_alu instid0(VALU_DEP_3) | instskip(NEXT) | instid1(VALU_DEP_3)
	v_add_f64 v[0:1], v[0:1], v[156:157]
	v_add_f64 v[2:3], v[2:3], v[158:159]
	s_delay_alu instid0(VALU_DEP_2) | instskip(NEXT) | instid1(VALU_DEP_2)
	v_add_f64 v[0:1], v[0:1], v[160:161]
	v_add_f64 v[2:3], v[2:3], v[162:163]
	s_delay_alu instid0(VALU_DEP_2) | instskip(NEXT) | instid1(VALU_DEP_2)
	;; [unrolled: 3-line block ×4, first 2 shown]
	v_add_f64 v[4:5], v[0:1], v[172:173]
	v_add_f64 v[6:7], v[2:3], v[174:175]
	;; [unrolled: 1-line block ×3, first 2 shown]
	v_add_f64 v[2:3], v[172:173], -v[176:177]
	v_add_f64 v[174:175], v[174:175], -v[178:179]
	v_add_f64 v[12:13], v[4:5], v[176:177]
	v_add_f64 v[14:15], v[6:7], v[178:179]
	ds_load_b128 v[4:7], v47 offset:21632
	ds_load_b128 v[8:11], v47 offset:24336
	v_mul_f64 v[205:206], v[174:175], s[36:37]
	s_waitcnt lgkmcnt(1)
	v_add_f64 v[172:173], v[168:169], v[4:5]
	v_add_f64 v[176:177], v[170:171], v[6:7]
	v_add_f64 v[168:169], v[168:169], -v[4:5]
	v_add_f64 v[178:179], v[170:171], -v[6:7]
	s_waitcnt lgkmcnt(0)
	v_add_f64 v[170:171], v[164:165], v[8:9]
	v_add_f64 v[183:184], v[166:167], v[10:11]
	v_add_f64 v[164:165], v[164:165], -v[8:9]
	v_add_f64 v[187:188], v[166:167], -v[10:11]
	v_add_f64 v[4:5], v[12:13], v[4:5]
	v_add_f64 v[6:7], v[14:15], v[6:7]
	s_delay_alu instid0(VALU_DEP_2) | instskip(NEXT) | instid1(VALU_DEP_2)
	v_add_f64 v[16:17], v[4:5], v[8:9]
	v_add_f64 v[18:19], v[6:7], v[10:11]
	ds_load_b128 v[8:11], v47 offset:27040
	ds_load_b128 v[12:15], v47 offset:29744
	s_waitcnt lgkmcnt(1)
	v_add_f64 v[166:167], v[160:161], v[8:9]
	v_add_f64 v[4:5], v[162:163], v[10:11]
	v_add_f64 v[160:161], v[160:161], -v[8:9]
	v_add_f64 v[6:7], v[162:163], -v[10:11]
	s_waitcnt lgkmcnt(0)
	v_add_f64 v[162:163], v[156:157], v[12:13]
	v_add_f64 v[189:190], v[158:159], v[14:15]
	v_add_f64 v[185:186], v[156:157], -v[12:13]
	v_add_f64 v[191:192], v[158:159], -v[14:15]
	v_add_f64 v[8:9], v[16:17], v[8:9]
	v_add_f64 v[10:11], v[18:19], v[10:11]
	s_delay_alu instid0(VALU_DEP_2) | instskip(NEXT) | instid1(VALU_DEP_2)
	v_add_f64 v[12:13], v[8:9], v[12:13]
	v_add_f64 v[14:15], v[10:11], v[14:15]
	ds_load_b128 v[8:11], v47 offset:32448
	s_waitcnt lgkmcnt(0)
	s_barrier
	buffer_gl0_inv
	v_add_f64 v[16:17], v[154:155], -v[10:11]
	v_add_f64 v[18:19], v[152:153], v[8:9]
	v_add_f64 v[20:21], v[154:155], v[10:11]
	v_add_f64 v[22:23], v[152:153], -v[8:9]
	v_add_f64 v[152:153], v[12:13], v[8:9]
	v_add_f64 v[154:155], v[14:15], v[10:11]
	v_mul_f64 v[8:9], v[16:17], s[26:27]
	v_mul_f64 v[10:11], v[16:17], s[24:25]
	;; [unrolled: 1-line block ×8, first 2 shown]
	v_fma_f64 v[26:27], v[18:19], s[20:21], v[8:9]
	v_fma_f64 v[8:9], v[18:19], s[20:21], -v[8:9]
	v_fma_f64 v[28:29], v[18:19], s[18:19], v[10:11]
	v_fma_f64 v[30:31], v[18:19], s[18:19], -v[10:11]
	;; [unrolled: 2-line block ×6, first 2 shown]
	v_mul_f64 v[10:11], v[20:21], s[20:21]
	v_mul_f64 v[16:17], v[20:21], s[18:19]
	;; [unrolled: 1-line block ×4, first 2 shown]
	v_fma_f64 v[69:70], v[22:23], s[40:41], v[43:44]
	v_fma_f64 v[43:44], v[22:23], s[2:3], v[43:44]
	;; [unrolled: 1-line block ×4, first 2 shown]
	v_add_f64 v[193:194], v[148:149], v[26:27]
	v_add_f64 v[26:27], v[148:149], v[28:29]
	;; [unrolled: 1-line block ×8, first 2 shown]
	v_fma_f64 v[48:49], v[22:23], s[36:37], v[10:11]
	v_fma_f64 v[50:51], v[22:23], s[26:27], v[10:11]
	;; [unrolled: 1-line block ×8, first 2 shown]
	v_add_f64 v[22:23], v[148:149], v[24:25]
	v_mul_f64 v[24:25], v[191:192], s[2:3]
	v_add_f64 v[10:11], v[148:149], v[8:9]
	v_add_f64 v[20:21], v[150:151], v[45:46]
	;; [unrolled: 1-line block ×14, first 2 shown]
	v_fma_f64 v[36:37], v[162:163], s[16:17], v[24:25]
	v_add_f64 v[12:13], v[150:151], v[197:198]
	v_mul_f64 v[197:198], v[176:177], s[8:9]
	v_fma_f64 v[24:25], v[162:163], s[16:17], -v[24:25]
	s_delay_alu instid0(VALU_DEP_4) | instskip(SKIP_1) | instid1(VALU_DEP_3)
	v_add_f64 v[26:27], v[36:37], v[26:27]
	v_mul_f64 v[36:37], v[189:190], s[16:17]
	v_add_f64 v[24:25], v[24:25], v[30:31]
	s_delay_alu instid0(VALU_DEP_2) | instskip(NEXT) | instid1(VALU_DEP_1)
	v_fma_f64 v[38:39], v[185:186], s[40:41], v[36:37]
	v_add_f64 v[28:29], v[38:39], v[28:29]
	v_mul_f64 v[38:39], v[6:7], s[30:31]
	s_delay_alu instid0(VALU_DEP_1) | instskip(SKIP_1) | instid1(VALU_DEP_2)
	v_fma_f64 v[41:42], v[166:167], s[28:29], v[38:39]
	v_fma_f64 v[30:31], v[166:167], s[28:29], -v[38:39]
	v_add_f64 v[26:27], v[41:42], v[26:27]
	v_mul_f64 v[41:42], v[4:5], s[28:29]
	s_delay_alu instid0(VALU_DEP_3) | instskip(NEXT) | instid1(VALU_DEP_2)
	v_add_f64 v[24:25], v[30:31], v[24:25]
	v_fma_f64 v[45:46], v[160:161], s[44:45], v[41:42]
	v_fma_f64 v[30:31], v[160:161], s[30:31], v[41:42]
	s_delay_alu instid0(VALU_DEP_2) | instskip(SKIP_1) | instid1(VALU_DEP_1)
	v_add_f64 v[28:29], v[45:46], v[28:29]
	v_mul_f64 v[45:46], v[187:188], s[38:39]
	v_fma_f64 v[148:149], v[170:171], s[22:23], v[45:46]
	s_delay_alu instid0(VALU_DEP_1) | instskip(SKIP_1) | instid1(VALU_DEP_1)
	v_add_f64 v[26:27], v[148:149], v[26:27]
	v_mul_f64 v[148:149], v[183:184], s[22:23]
	v_fma_f64 v[150:151], v[164:165], s[12:13], v[148:149]
	s_delay_alu instid0(VALU_DEP_1) | instskip(SKIP_1) | instid1(VALU_DEP_1)
	;; [unrolled: 4-line block ×3, first 2 shown]
	v_add_f64 v[26:27], v[156:157], v[26:27]
	v_fma_f64 v[156:157], v[168:169], s[14:15], v[197:198]
	v_add_f64 v[28:29], v[156:157], v[28:29]
	v_fma_f64 v[156:157], v[0:1], s[20:21], v[205:206]
	s_delay_alu instid0(VALU_DEP_1) | instskip(SKIP_1) | instid1(VALU_DEP_1)
	v_add_f64 v[156:157], v[156:157], v[26:27]
	v_mul_f64 v[26:27], v[181:182], s[20:21]
	v_fma_f64 v[158:159], v[2:3], s[26:27], v[26:27]
	v_fma_f64 v[26:27], v[2:3], s[36:37], v[26:27]
	s_delay_alu instid0(VALU_DEP_2) | instskip(SKIP_1) | instid1(VALU_DEP_1)
	v_add_f64 v[158:159], v[158:159], v[28:29]
	v_fma_f64 v[28:29], v[185:186], s[2:3], v[36:37]
	v_add_f64 v[28:29], v[28:29], v[48:49]
	s_delay_alu instid0(VALU_DEP_1) | instskip(SKIP_1) | instid1(VALU_DEP_1)
	v_add_f64 v[28:29], v[30:31], v[28:29]
	v_fma_f64 v[30:31], v[170:171], s[22:23], -v[45:46]
	v_add_f64 v[24:25], v[30:31], v[24:25]
	v_fma_f64 v[30:31], v[164:165], s[38:39], v[148:149]
	s_delay_alu instid0(VALU_DEP_1) | instskip(SKIP_1) | instid1(VALU_DEP_1)
	v_add_f64 v[28:29], v[30:31], v[28:29]
	v_fma_f64 v[30:31], v[172:173], s[8:9], -v[150:151]
	v_add_f64 v[24:25], v[30:31], v[24:25]
	v_fma_f64 v[30:31], v[168:169], s[34:35], v[197:198]
	s_delay_alu instid0(VALU_DEP_1) | instskip(SKIP_1) | instid1(VALU_DEP_2)
	v_add_f64 v[28:29], v[30:31], v[28:29]
	v_fma_f64 v[30:31], v[0:1], s[20:21], -v[205:206]
	v_add_f64 v[150:151], v[26:27], v[28:29]
	v_mul_f64 v[28:29], v[191:192], s[30:31]
	s_delay_alu instid0(VALU_DEP_3) | instskip(SKIP_1) | instid1(VALU_DEP_3)
	v_add_f64 v[148:149], v[30:31], v[24:25]
	v_mul_f64 v[30:31], v[189:190], s[28:29]
	v_fma_f64 v[24:25], v[162:163], s[28:29], v[28:29]
	v_fma_f64 v[28:29], v[162:163], s[28:29], -v[28:29]
	s_delay_alu instid0(VALU_DEP_3) | instskip(SKIP_1) | instid1(VALU_DEP_4)
	v_fma_f64 v[26:27], v[185:186], s[44:45], v[30:31]
	v_fma_f64 v[30:31], v[185:186], s[30:31], v[30:31]
	v_add_f64 v[24:25], v[24:25], v[32:33]
	v_mul_f64 v[32:33], v[6:7], s[40:41]
	s_delay_alu instid0(VALU_DEP_4)
	v_add_f64 v[26:27], v[26:27], v[50:51]
	v_add_f64 v[28:29], v[28:29], v[52:53]
	;; [unrolled: 1-line block ×3, first 2 shown]
	v_mul_f64 v[52:53], v[183:184], s[8:9]
	v_mul_f64 v[58:59], v[178:179], s[44:45]
	v_fma_f64 v[36:37], v[166:167], s[16:17], v[32:33]
	v_fma_f64 v[32:33], v[166:167], s[16:17], -v[32:33]
	s_delay_alu instid0(VALU_DEP_2) | instskip(SKIP_1) | instid1(VALU_DEP_3)
	v_add_f64 v[24:25], v[36:37], v[24:25]
	v_mul_f64 v[36:37], v[4:5], s[16:17]
	v_add_f64 v[28:29], v[32:33], v[28:29]
	s_delay_alu instid0(VALU_DEP_2) | instskip(SKIP_1) | instid1(VALU_DEP_2)
	v_fma_f64 v[38:39], v[160:161], s[2:3], v[36:37]
	v_fma_f64 v[32:33], v[160:161], s[40:41], v[36:37]
	v_add_f64 v[26:27], v[38:39], v[26:27]
	v_mul_f64 v[38:39], v[187:188], s[36:37]
	s_delay_alu instid0(VALU_DEP_3) | instskip(NEXT) | instid1(VALU_DEP_2)
	v_add_f64 v[30:31], v[32:33], v[30:31]
	v_fma_f64 v[41:42], v[170:171], s[20:21], v[38:39]
	v_fma_f64 v[32:33], v[170:171], s[20:21], -v[38:39]
	s_delay_alu instid0(VALU_DEP_2) | instskip(SKIP_1) | instid1(VALU_DEP_3)
	v_add_f64 v[24:25], v[41:42], v[24:25]
	v_mul_f64 v[41:42], v[183:184], s[20:21]
	v_add_f64 v[28:29], v[32:33], v[28:29]
	s_delay_alu instid0(VALU_DEP_2) | instskip(SKIP_2) | instid1(VALU_DEP_3)
	v_fma_f64 v[45:46], v[164:165], s[26:27], v[41:42]
	v_fma_f64 v[32:33], v[164:165], s[36:37], v[41:42]
	v_mul_f64 v[41:42], v[189:190], s[22:23]
	v_add_f64 v[26:27], v[45:46], v[26:27]
	v_mul_f64 v[45:46], v[178:179], s[24:25]
	s_delay_alu instid0(VALU_DEP_4) | instskip(NEXT) | instid1(VALU_DEP_2)
	v_add_f64 v[30:31], v[32:33], v[30:31]
	v_fma_f64 v[48:49], v[172:173], s[18:19], v[45:46]
	v_fma_f64 v[32:33], v[172:173], s[18:19], -v[45:46]
	v_mul_f64 v[45:46], v[6:7], s[36:37]
	s_delay_alu instid0(VALU_DEP_3) | instskip(SKIP_1) | instid1(VALU_DEP_4)
	v_add_f64 v[24:25], v[48:49], v[24:25]
	v_mul_f64 v[48:49], v[176:177], s[18:19]
	v_add_f64 v[28:29], v[32:33], v[28:29]
	s_delay_alu instid0(VALU_DEP_4) | instskip(NEXT) | instid1(VALU_DEP_3)
	v_fma_f64 v[38:39], v[166:167], s[20:21], v[45:46]
	v_fma_f64 v[50:51], v[168:169], s[42:43], v[48:49]
	;; [unrolled: 1-line block ×3, first 2 shown]
	v_mul_f64 v[48:49], v[4:5], s[20:21]
	s_delay_alu instid0(VALU_DEP_3) | instskip(SKIP_1) | instid1(VALU_DEP_4)
	v_add_f64 v[26:27], v[50:51], v[26:27]
	v_mul_f64 v[50:51], v[174:175], s[12:13]
	v_add_f64 v[32:33], v[32:33], v[30:31]
	s_delay_alu instid0(VALU_DEP_2) | instskip(SKIP_2) | instid1(VALU_DEP_3)
	v_fma_f64 v[197:198], v[0:1], s[22:23], v[50:51]
	v_fma_f64 v[30:31], v[0:1], s[22:23], -v[50:51]
	v_mul_f64 v[50:51], v[187:188], s[14:15]
	v_add_f64 v[24:25], v[197:198], v[24:25]
	v_mul_f64 v[197:198], v[181:182], s[22:23]
	s_delay_alu instid0(VALU_DEP_4) | instskip(SKIP_1) | instid1(VALU_DEP_3)
	v_add_f64 v[30:31], v[30:31], v[28:29]
	v_mul_f64 v[28:29], v[191:192], s[38:39]
	v_fma_f64 v[36:37], v[2:3], s[12:13], v[197:198]
	v_fma_f64 v[205:206], v[2:3], s[38:39], v[197:198]
	v_mul_f64 v[197:198], v[174:175], s[42:43]
	s_delay_alu instid0(VALU_DEP_3) | instskip(SKIP_3) | instid1(VALU_DEP_3)
	v_add_f64 v[32:33], v[36:37], v[32:33]
	v_fma_f64 v[36:37], v[162:163], s[22:23], v[28:29]
	v_fma_f64 v[28:29], v[162:163], s[22:23], -v[28:29]
	v_add_f64 v[26:27], v[205:206], v[26:27]
	v_add_f64 v[34:35], v[36:37], v[34:35]
	v_fma_f64 v[36:37], v[185:186], s[12:13], v[41:42]
	v_fma_f64 v[41:42], v[185:186], s[38:39], v[41:42]
	v_add_f64 v[28:29], v[28:29], v[199:200]
	s_delay_alu instid0(VALU_DEP_4) | instskip(NEXT) | instid1(VALU_DEP_4)
	v_add_f64 v[34:35], v[38:39], v[34:35]
	v_add_f64 v[36:37], v[36:37], v[69:70]
	v_fma_f64 v[38:39], v[160:161], s[26:27], v[48:49]
	v_add_f64 v[41:42], v[41:42], v[43:44]
	v_fma_f64 v[43:44], v[166:167], s[20:21], -v[45:46]
	v_mul_f64 v[69:70], v[176:177], s[28:29]
	v_mul_f64 v[45:46], v[6:7], s[24:25]
	v_add_f64 v[36:37], v[38:39], v[36:37]
	v_fma_f64 v[38:39], v[170:171], s[8:9], v[50:51]
	v_add_f64 v[28:29], v[43:44], v[28:29]
	v_fma_f64 v[43:44], v[160:161], s[36:37], v[48:49]
	v_fma_f64 v[48:49], v[166:167], s[18:19], v[45:46]
	s_delay_alu instid0(VALU_DEP_4) | instskip(SKIP_1) | instid1(VALU_DEP_4)
	v_add_f64 v[34:35], v[38:39], v[34:35]
	v_fma_f64 v[38:39], v[164:165], s[34:35], v[52:53]
	v_add_f64 v[41:42], v[43:44], v[41:42]
	v_fma_f64 v[43:44], v[170:171], s[8:9], -v[50:51]
	s_delay_alu instid0(VALU_DEP_3) | instskip(SKIP_1) | instid1(VALU_DEP_3)
	v_add_f64 v[36:37], v[38:39], v[36:37]
	v_fma_f64 v[38:39], v[172:173], s[28:29], v[58:59]
	v_add_f64 v[28:29], v[43:44], v[28:29]
	v_fma_f64 v[43:44], v[164:165], s[14:15], v[52:53]
	s_delay_alu instid0(VALU_DEP_3) | instskip(SKIP_1) | instid1(VALU_DEP_3)
	v_add_f64 v[34:35], v[38:39], v[34:35]
	v_fma_f64 v[38:39], v[168:169], s[30:31], v[69:70]
	v_add_f64 v[41:42], v[43:44], v[41:42]
	v_fma_f64 v[43:44], v[172:173], s[28:29], -v[58:59]
	s_delay_alu instid0(VALU_DEP_3) | instskip(SKIP_1) | instid1(VALU_DEP_3)
	v_add_f64 v[38:39], v[38:39], v[36:37]
	v_fma_f64 v[36:37], v[0:1], s[18:19], v[197:198]
	v_add_f64 v[28:29], v[43:44], v[28:29]
	v_fma_f64 v[43:44], v[168:169], s[44:45], v[69:70]
	s_delay_alu instid0(VALU_DEP_3) | instskip(SKIP_1) | instid1(VALU_DEP_3)
	v_add_f64 v[36:37], v[36:37], v[34:35]
	v_mul_f64 v[34:35], v[181:182], s[18:19]
	v_add_f64 v[41:42], v[43:44], v[41:42]
	v_fma_f64 v[43:44], v[0:1], s[18:19], -v[197:198]
	s_delay_alu instid0(VALU_DEP_3) | instskip(SKIP_1) | instid1(VALU_DEP_3)
	v_fma_f64 v[205:206], v[2:3], s[24:25], v[34:35]
	v_fma_f64 v[34:35], v[2:3], s[42:43], v[34:35]
	v_add_f64 v[197:198], v[43:44], v[28:29]
	v_mul_f64 v[28:29], v[191:192], s[34:35]
	s_delay_alu instid0(VALU_DEP_4) | instskip(NEXT) | instid1(VALU_DEP_4)
	v_add_f64 v[38:39], v[205:206], v[38:39]
	v_add_f64 v[199:200], v[34:35], v[41:42]
	v_mul_f64 v[41:42], v[189:190], s[8:9]
	s_delay_alu instid0(VALU_DEP_4) | instskip(SKIP_2) | instid1(VALU_DEP_4)
	v_fma_f64 v[34:35], v[162:163], s[8:9], v[28:29]
	v_fma_f64 v[28:29], v[162:163], s[8:9], -v[28:29]
	v_mul_f64 v[205:206], v[174:175], s[2:3]
	v_fma_f64 v[43:44], v[185:186], s[14:15], v[41:42]
	s_delay_alu instid0(VALU_DEP_4) | instskip(NEXT) | instid1(VALU_DEP_4)
	v_add_f64 v[34:35], v[34:35], v[201:202]
	v_add_f64 v[22:23], v[28:29], v[22:23]
	v_fma_f64 v[28:29], v[185:186], s[34:35], v[41:42]
	s_delay_alu instid0(VALU_DEP_4) | instskip(NEXT) | instid1(VALU_DEP_4)
	v_add_f64 v[43:44], v[43:44], v[203:204]
	v_add_f64 v[34:35], v[48:49], v[34:35]
	v_mul_f64 v[48:49], v[4:5], s[18:19]
	s_delay_alu instid0(VALU_DEP_4) | instskip(SKIP_1) | instid1(VALU_DEP_3)
	v_add_f64 v[20:21], v[28:29], v[20:21]
	v_fma_f64 v[28:29], v[166:167], s[18:19], -v[45:46]
	v_fma_f64 v[50:51], v[160:161], s[42:43], v[48:49]
	s_delay_alu instid0(VALU_DEP_2) | instskip(SKIP_1) | instid1(VALU_DEP_3)
	v_add_f64 v[22:23], v[28:29], v[22:23]
	v_fma_f64 v[28:29], v[160:161], s[24:25], v[48:49]
	v_add_f64 v[43:44], v[50:51], v[43:44]
	v_mul_f64 v[50:51], v[187:188], s[44:45]
	s_delay_alu instid0(VALU_DEP_3) | instskip(NEXT) | instid1(VALU_DEP_2)
	v_add_f64 v[20:21], v[28:29], v[20:21]
	v_fma_f64 v[52:53], v[170:171], s[28:29], v[50:51]
	v_fma_f64 v[28:29], v[170:171], s[28:29], -v[50:51]
	s_delay_alu instid0(VALU_DEP_2) | instskip(SKIP_1) | instid1(VALU_DEP_3)
	v_add_f64 v[34:35], v[52:53], v[34:35]
	v_mul_f64 v[52:53], v[183:184], s[28:29]
	v_add_f64 v[22:23], v[28:29], v[22:23]
	s_delay_alu instid0(VALU_DEP_2) | instskip(SKIP_1) | instid1(VALU_DEP_2)
	v_fma_f64 v[58:59], v[164:165], s[30:31], v[52:53]
	v_fma_f64 v[28:29], v[164:165], s[44:45], v[52:53]
	v_add_f64 v[43:44], v[58:59], v[43:44]
	v_mul_f64 v[58:59], v[178:179], s[36:37]
	s_delay_alu instid0(VALU_DEP_3) | instskip(NEXT) | instid1(VALU_DEP_2)
	v_add_f64 v[20:21], v[28:29], v[20:21]
	v_fma_f64 v[69:70], v[172:173], s[20:21], v[58:59]
	v_fma_f64 v[28:29], v[172:173], s[20:21], -v[58:59]
	s_delay_alu instid0(VALU_DEP_2) | instskip(SKIP_1) | instid1(VALU_DEP_3)
	v_add_f64 v[34:35], v[69:70], v[34:35]
	v_mul_f64 v[69:70], v[176:177], s[20:21]
	v_add_f64 v[22:23], v[28:29], v[22:23]
	s_delay_alu instid0(VALU_DEP_2) | instskip(SKIP_2) | instid1(VALU_DEP_3)
	v_fma_f64 v[201:202], v[168:169], s[26:27], v[69:70]
	v_fma_f64 v[28:29], v[168:169], s[36:37], v[69:70]
	v_mul_f64 v[69:70], v[174:175], s[34:35]
	v_add_f64 v[43:44], v[201:202], v[43:44]
	v_fma_f64 v[201:202], v[0:1], s[16:17], v[205:206]
	s_delay_alu instid0(VALU_DEP_4) | instskip(SKIP_2) | instid1(VALU_DEP_4)
	v_add_f64 v[28:29], v[28:29], v[20:21]
	v_fma_f64 v[20:21], v[0:1], s[16:17], -v[205:206]
	v_mul_f64 v[205:206], v[181:182], s[8:9]
	v_add_f64 v[201:202], v[201:202], v[34:35]
	v_mul_f64 v[34:35], v[181:182], s[16:17]
	s_delay_alu instid0(VALU_DEP_4) | instskip(NEXT) | instid1(VALU_DEP_2)
	v_add_f64 v[20:21], v[20:21], v[22:23]
	v_fma_f64 v[203:204], v[2:3], s[40:41], v[34:35]
	v_fma_f64 v[34:35], v[2:3], s[2:3], v[34:35]
	s_delay_alu instid0(VALU_DEP_2) | instskip(NEXT) | instid1(VALU_DEP_2)
	v_add_f64 v[203:204], v[203:204], v[43:44]
	v_add_f64 v[22:23], v[34:35], v[28:29]
	v_mul_f64 v[28:29], v[191:192], s[36:37]
	s_delay_alu instid0(VALU_DEP_1) | instskip(SKIP_1) | instid1(VALU_DEP_2)
	v_fma_f64 v[34:35], v[162:163], s[20:21], v[28:29]
	v_fma_f64 v[28:29], v[162:163], s[20:21], -v[28:29]
	v_add_f64 v[18:19], v[34:35], v[18:19]
	v_mul_f64 v[34:35], v[189:190], s[20:21]
	s_delay_alu instid0(VALU_DEP_3) | instskip(NEXT) | instid1(VALU_DEP_2)
	v_add_f64 v[14:15], v[28:29], v[14:15]
	v_fma_f64 v[41:42], v[185:186], s[26:27], v[34:35]
	v_fma_f64 v[28:29], v[185:186], s[36:37], v[34:35]
	;; [unrolled: 1-line block ×3, first 2 shown]
	s_delay_alu instid0(VALU_DEP_3) | instskip(SKIP_1) | instid1(VALU_DEP_4)
	v_add_f64 v[16:17], v[41:42], v[16:17]
	v_mul_f64 v[41:42], v[6:7], s[12:13]
	v_add_f64 v[12:13], v[28:29], v[12:13]
	s_delay_alu instid0(VALU_DEP_2) | instskip(SKIP_1) | instid1(VALU_DEP_2)
	v_fma_f64 v[43:44], v[166:167], s[22:23], v[41:42]
	v_fma_f64 v[28:29], v[166:167], s[22:23], -v[41:42]
	v_add_f64 v[18:19], v[43:44], v[18:19]
	v_mul_f64 v[43:44], v[4:5], s[22:23]
	s_delay_alu instid0(VALU_DEP_3) | instskip(NEXT) | instid1(VALU_DEP_2)
	v_add_f64 v[14:15], v[28:29], v[14:15]
	v_fma_f64 v[45:46], v[160:161], s[38:39], v[43:44]
	v_fma_f64 v[28:29], v[160:161], s[12:13], v[43:44]
	s_delay_alu instid0(VALU_DEP_2) | instskip(SKIP_1) | instid1(VALU_DEP_3)
	v_add_f64 v[16:17], v[45:46], v[16:17]
	v_mul_f64 v[45:46], v[187:188], s[42:43]
	v_add_f64 v[12:13], v[28:29], v[12:13]
	s_delay_alu instid0(VALU_DEP_2) | instskip(SKIP_1) | instid1(VALU_DEP_2)
	v_fma_f64 v[48:49], v[170:171], s[18:19], v[45:46]
	v_fma_f64 v[28:29], v[170:171], s[18:19], -v[45:46]
	v_add_f64 v[18:19], v[48:49], v[18:19]
	v_mul_f64 v[48:49], v[183:184], s[18:19]
	s_delay_alu instid0(VALU_DEP_3) | instskip(NEXT) | instid1(VALU_DEP_2)
	v_add_f64 v[14:15], v[28:29], v[14:15]
	v_fma_f64 v[50:51], v[164:165], s[24:25], v[48:49]
	v_fma_f64 v[28:29], v[164:165], s[42:43], v[48:49]
	s_delay_alu instid0(VALU_DEP_2) | instskip(SKIP_1) | instid1(VALU_DEP_3)
	v_add_f64 v[16:17], v[50:51], v[16:17]
	v_mul_f64 v[50:51], v[178:179], s[2:3]
	v_add_f64 v[12:13], v[28:29], v[12:13]
	s_delay_alu instid0(VALU_DEP_2) | instskip(SKIP_1) | instid1(VALU_DEP_2)
	v_fma_f64 v[52:53], v[172:173], s[16:17], v[50:51]
	v_fma_f64 v[28:29], v[172:173], s[16:17], -v[50:51]
	v_add_f64 v[18:19], v[52:53], v[18:19]
	v_mul_f64 v[52:53], v[176:177], s[16:17]
	s_delay_alu instid0(VALU_DEP_3) | instskip(NEXT) | instid1(VALU_DEP_2)
	v_add_f64 v[14:15], v[28:29], v[14:15]
	v_fma_f64 v[28:29], v[168:169], s[2:3], v[52:53]
	v_fma_f64 v[58:59], v[168:169], s[40:41], v[52:53]
	v_mul_f64 v[52:53], v[174:175], s[30:31]
	s_delay_alu instid0(VALU_DEP_3) | instskip(SKIP_1) | instid1(VALU_DEP_4)
	v_add_f64 v[28:29], v[28:29], v[12:13]
	v_fma_f64 v[12:13], v[0:1], s[8:9], -v[69:70]
	v_add_f64 v[58:59], v[58:59], v[16:17]
	v_fma_f64 v[16:17], v[0:1], s[8:9], v[69:70]
	s_delay_alu instid0(VALU_DEP_3) | instskip(SKIP_2) | instid1(VALU_DEP_4)
	v_add_f64 v[12:13], v[12:13], v[14:15]
	v_add_f64 v[14:15], v[34:35], v[28:29]
	v_mul_f64 v[28:29], v[191:192], s[24:25]
	v_add_f64 v[16:17], v[16:17], v[18:19]
	v_fma_f64 v[18:19], v[2:3], s[14:15], v[205:206]
	s_delay_alu instid0(VALU_DEP_3) | instskip(SKIP_1) | instid1(VALU_DEP_3)
	v_fma_f64 v[34:35], v[162:163], s[18:19], -v[28:29]
	v_fma_f64 v[28:29], v[162:163], s[18:19], v[28:29]
	v_add_f64 v[18:19], v[18:19], v[58:59]
	v_mul_f64 v[58:59], v[181:182], s[28:29]
	s_delay_alu instid0(VALU_DEP_4) | instskip(SKIP_2) | instid1(VALU_DEP_2)
	v_add_f64 v[10:11], v[34:35], v[10:11]
	v_mul_f64 v[34:35], v[189:190], s[18:19]
	v_add_f64 v[28:29], v[28:29], v[193:194]
	v_fma_f64 v[41:42], v[185:186], s[24:25], v[34:35]
	v_fma_f64 v[34:35], v[185:186], s[42:43], v[34:35]
	s_delay_alu instid0(VALU_DEP_2) | instskip(SKIP_1) | instid1(VALU_DEP_3)
	v_add_f64 v[8:9], v[41:42], v[8:9]
	v_mul_f64 v[41:42], v[6:7], s[14:15]
	v_add_f64 v[34:35], v[34:35], v[195:196]
	s_delay_alu instid0(VALU_DEP_2) | instskip(SKIP_1) | instid1(VALU_DEP_2)
	v_fma_f64 v[6:7], v[166:167], s[8:9], -v[41:42]
	v_fma_f64 v[41:42], v[166:167], s[8:9], v[41:42]
	v_add_f64 v[6:7], v[6:7], v[10:11]
	v_mul_f64 v[10:11], v[4:5], s[8:9]
	s_delay_alu instid0(VALU_DEP_3) | instskip(NEXT) | instid1(VALU_DEP_2)
	v_add_f64 v[28:29], v[41:42], v[28:29]
	v_fma_f64 v[4:5], v[160:161], s[14:15], v[10:11]
	v_fma_f64 v[10:11], v[160:161], s[34:35], v[10:11]
	s_delay_alu instid0(VALU_DEP_2) | instskip(SKIP_1) | instid1(VALU_DEP_3)
	v_add_f64 v[4:5], v[4:5], v[8:9]
	v_mul_f64 v[8:9], v[187:188], s[2:3]
	v_add_f64 v[10:11], v[10:11], v[34:35]
	s_delay_alu instid0(VALU_DEP_2) | instskip(SKIP_1) | instid1(VALU_DEP_2)
	v_fma_f64 v[43:44], v[170:171], s[16:17], -v[8:9]
	v_fma_f64 v[8:9], v[170:171], s[16:17], v[8:9]
	v_add_f64 v[6:7], v[43:44], v[6:7]
	v_mul_f64 v[43:44], v[183:184], s[16:17]
	s_delay_alu instid0(VALU_DEP_3) | instskip(NEXT) | instid1(VALU_DEP_2)
	v_add_f64 v[8:9], v[8:9], v[28:29]
	v_fma_f64 v[45:46], v[164:165], s[2:3], v[43:44]
	v_fma_f64 v[43:44], v[164:165], s[40:41], v[43:44]
	s_delay_alu instid0(VALU_DEP_2) | instskip(SKIP_1) | instid1(VALU_DEP_3)
	v_add_f64 v[4:5], v[45:46], v[4:5]
	v_mul_f64 v[45:46], v[178:179], s[12:13]
	v_add_f64 v[10:11], v[43:44], v[10:11]
	s_delay_alu instid0(VALU_DEP_2) | instskip(SKIP_1) | instid1(VALU_DEP_2)
	v_fma_f64 v[48:49], v[172:173], s[22:23], -v[45:46]
	v_fma_f64 v[34:35], v[172:173], s[22:23], v[45:46]
	v_add_f64 v[6:7], v[48:49], v[6:7]
	v_mul_f64 v[48:49], v[176:177], s[22:23]
	s_delay_alu instid0(VALU_DEP_3) | instskip(NEXT) | instid1(VALU_DEP_2)
	v_add_f64 v[8:9], v[34:35], v[8:9]
	v_fma_f64 v[50:51], v[168:169], s[12:13], v[48:49]
	v_fma_f64 v[41:42], v[168:169], s[38:39], v[48:49]
	s_delay_alu instid0(VALU_DEP_2) | instskip(SKIP_2) | instid1(VALU_DEP_4)
	v_add_f64 v[50:51], v[50:51], v[4:5]
	v_fma_f64 v[4:5], v[0:1], s[28:29], -v[52:53]
	v_fma_f64 v[0:1], v[0:1], s[28:29], v[52:53]
	v_add_f64 v[10:11], v[41:42], v[10:11]
	s_delay_alu instid0(VALU_DEP_3) | instskip(SKIP_3) | instid1(VALU_DEP_3)
	v_add_f64 v[4:5], v[4:5], v[6:7]
	v_fma_f64 v[6:7], v[2:3], s[30:31], v[58:59]
	v_fma_f64 v[2:3], v[2:3], s[44:45], v[58:59]
	v_add_f64 v[0:1], v[0:1], v[8:9]
	v_add_f64 v[6:7], v[6:7], v[50:51]
	s_delay_alu instid0(VALU_DEP_3)
	v_add_f64 v[2:3], v[2:3], v[10:11]
	ds_store_b128 v68, v[156:159] offset:32
	ds_store_b128 v68, v[24:27] offset:48
	;; [unrolled: 1-line block ×12, first 2 shown]
	ds_store_b128 v68, v[152:155]
	s_waitcnt lgkmcnt(0)
	s_barrier
	buffer_gl0_inv
	ds_load_b128 v[0:3], v47 offset:2704
	ds_load_b128 v[4:7], v47
	scratch_load_b128 v[14:17], off, off offset:220 ; 16-byte Folded Reload
	s_waitcnt vmcnt(0) lgkmcnt(1)
	v_mul_f64 v[8:9], v[16:17], v[2:3]
	s_delay_alu instid0(VALU_DEP_1) | instskip(SKIP_1) | instid1(VALU_DEP_1)
	v_fma_f64 v[12:13], v[14:15], v[0:1], v[8:9]
	v_mul_f64 v[0:1], v[16:17], v[0:1]
	v_fma_f64 v[14:15], v[14:15], v[2:3], -v[0:1]
	ds_load_b128 v[0:3], v47 offset:5408
	ds_load_b128 v[8:11], v47 offset:8112
	s_waitcnt lgkmcnt(1)
	v_mul_f64 v[16:17], v[251:252], v[2:3]
	v_add_f64 v[154:155], v[6:7], v[14:15]
	s_delay_alu instid0(VALU_DEP_2) | instskip(SKIP_1) | instid1(VALU_DEP_1)
	v_fma_f64 v[148:149], v[249:250], v[0:1], v[16:17]
	v_mul_f64 v[0:1], v[251:252], v[0:1]
	v_fma_f64 v[150:151], v[249:250], v[2:3], -v[0:1]
	s_waitcnt lgkmcnt(0)
	v_mul_f64 v[0:1], v[82:83], v[10:11]
	s_delay_alu instid0(VALU_DEP_1) | instskip(SKIP_1) | instid1(VALU_DEP_1)
	v_fma_f64 v[152:153], v[80:81], v[8:9], v[0:1]
	v_mul_f64 v[0:1], v[82:83], v[8:9]
	v_fma_f64 v[80:81], v[80:81], v[10:11], -v[0:1]
	ds_load_b128 v[0:3], v47 offset:10816
	ds_load_b128 v[8:11], v47 offset:13520
	s_waitcnt lgkmcnt(1)
	v_mul_f64 v[16:17], v[56:57], v[2:3]
	s_delay_alu instid0(VALU_DEP_1) | instskip(SKIP_1) | instid1(VALU_DEP_1)
	v_fma_f64 v[82:83], v[54:55], v[0:1], v[16:17]
	v_mul_f64 v[0:1], v[56:57], v[0:1]
	v_fma_f64 v[68:69], v[54:55], v[2:3], -v[0:1]
	s_waitcnt lgkmcnt(0)
	v_mul_f64 v[0:1], v[90:91], v[10:11]
	s_delay_alu instid0(VALU_DEP_1) | instskip(SKIP_1) | instid1(VALU_DEP_1)
	v_fma_f64 v[70:71], v[88:89], v[8:9], v[0:1]
	v_mul_f64 v[0:1], v[90:91], v[8:9]
	v_fma_f64 v[88:89], v[88:89], v[10:11], -v[0:1]
	ds_load_b128 v[0:3], v47 offset:16224
	ds_load_b128 v[8:11], v47 offset:18928
	s_waitcnt lgkmcnt(1)
	v_mul_f64 v[16:17], v[74:75], v[2:3]
	s_delay_alu instid0(VALU_DEP_1) | instskip(SKIP_1) | instid1(VALU_DEP_1)
	;; [unrolled: 14-line block ×3, first 2 shown]
	v_fma_f64 v[94:95], v[76:77], v[0:1], v[16:17]
	v_mul_f64 v[0:1], v[78:79], v[0:1]
	v_fma_f64 v[76:77], v[76:77], v[2:3], -v[0:1]
	s_waitcnt lgkmcnt(0)
	v_mul_f64 v[0:1], v[102:103], v[10:11]
	s_delay_alu instid0(VALU_DEP_1) | instskip(SKIP_1) | instid1(VALU_DEP_1)
	v_fma_f64 v[78:79], v[100:101], v[8:9], v[0:1]
	v_mul_f64 v[0:1], v[102:103], v[8:9]
	v_fma_f64 v[100:101], v[100:101], v[10:11], -v[0:1]
	ds_load_b128 v[0:3], v47 offset:27040
	ds_load_b128 v[8:11], v47 offset:29744
	s_waitcnt lgkmcnt(1)
	v_mul_f64 v[16:17], v[86:87], v[2:3]
	s_delay_alu instid0(VALU_DEP_1) | instskip(SKIP_1) | instid1(VALU_DEP_2)
	v_fma_f64 v[102:103], v[84:85], v[0:1], v[16:17]
	v_mul_f64 v[0:1], v[86:87], v[0:1]
	v_add_f64 v[193:194], v[152:153], v[102:103]
	s_delay_alu instid0(VALU_DEP_2) | instskip(SKIP_3) | instid1(VALU_DEP_3)
	v_fma_f64 v[84:85], v[84:85], v[2:3], -v[0:1]
	s_waitcnt lgkmcnt(0)
	v_mul_f64 v[0:1], v[106:107], v[10:11]
	v_add_f64 v[199:200], v[152:153], -v[102:103]
	v_add_f64 v[205:206], v[80:81], -v[84:85]
	s_delay_alu instid0(VALU_DEP_3) | instskip(SKIP_2) | instid1(VALU_DEP_3)
	v_fma_f64 v[86:87], v[104:105], v[8:9], v[0:1]
	v_mul_f64 v[0:1], v[106:107], v[8:9]
	v_add_f64 v[211:212], v[80:81], v[84:85]
	v_add_f64 v[168:169], v[148:149], v[86:87]
	s_delay_alu instid0(VALU_DEP_3)
	v_fma_f64 v[104:105], v[104:105], v[10:11], -v[0:1]
	ds_load_b128 v[0:3], v47 offset:32448
	v_add_f64 v[170:171], v[148:149], -v[86:87]
	s_waitcnt lgkmcnt(0)
	s_barrier
	buffer_gl0_inv
	v_mul_f64 v[8:9], v[98:99], v[0:1]
	v_add_f64 v[181:182], v[150:151], -v[104:105]
	v_add_f64 v[183:184], v[150:151], v[104:105]
	s_delay_alu instid0(VALU_DEP_3) | instskip(SKIP_2) | instid1(VALU_DEP_2)
	v_fma_f64 v[106:107], v[96:97], v[2:3], -v[8:9]
	v_mul_f64 v[2:3], v[98:99], v[2:3]
	v_add_f64 v[98:99], v[4:5], v[12:13]
	v_fma_f64 v[96:97], v[96:97], v[0:1], v[2:3]
	s_delay_alu instid0(VALU_DEP_4) | instskip(NEXT) | instid1(VALU_DEP_2)
	v_add_f64 v[0:1], v[14:15], -v[106:107]
	v_add_f64 v[20:21], v[12:13], v[96:97]
	s_delay_alu instid0(VALU_DEP_2)
	v_mul_f64 v[2:3], v[0:1], s[26:27]
	v_mul_f64 v[8:9], v[0:1], s[24:25]
	v_mul_f64 v[10:11], v[0:1], s[14:15]
	v_mul_f64 v[16:17], v[0:1], s[2:3]
	v_mul_f64 v[18:19], v[0:1], s[12:13]
	v_mul_f64 v[0:1], v[0:1], s[30:31]
	v_add_f64 v[45:46], v[12:13], -v[96:97]
	v_fma_f64 v[22:23], v[20:21], s[20:21], v[2:3]
	v_fma_f64 v[2:3], v[20:21], s[20:21], -v[2:3]
	v_fma_f64 v[24:25], v[20:21], s[18:19], v[8:9]
	v_fma_f64 v[8:9], v[20:21], s[18:19], -v[8:9]
	;; [unrolled: 2-line block ×6, first 2 shown]
	v_add_f64 v[0:1], v[14:15], v[106:107]
	v_add_f64 v[12:13], v[4:5], v[22:23]
	;; [unrolled: 1-line block ×13, first 2 shown]
	v_mul_f64 v[34:35], v[0:1], s[20:21]
	v_mul_f64 v[36:37], v[0:1], s[18:19]
	;; [unrolled: 1-line block ×9, first 2 shown]
	v_fma_f64 v[48:49], v[45:46], s[36:37], v[34:35]
	v_fma_f64 v[34:35], v[45:46], s[26:27], v[34:35]
	;; [unrolled: 1-line block ×12, first 2 shown]
	v_add_f64 v[14:15], v[6:7], v[48:49]
	v_add_f64 v[0:1], v[6:7], v[34:35]
	;; [unrolled: 1-line block ×12, first 2 shown]
	v_fma_f64 v[6:7], v[168:169], s[18:19], v[4:5]
	v_fma_f64 v[4:5], v[168:169], s[18:19], -v[4:5]
	v_add_f64 v[43:44], v[90:91], v[74:75]
	v_add_f64 v[50:51], v[90:91], -v[74:75]
	s_delay_alu instid0(VALU_DEP_4) | instskip(SKIP_3) | instid1(VALU_DEP_3)
	v_add_f64 v[8:9], v[6:7], v[12:13]
	v_mul_f64 v[6:7], v[183:184], s[18:19]
	v_fma_f64 v[12:13], v[193:194], s[8:9], v[16:17]
	v_add_f64 v[2:3], v[4:5], v[2:3]
	v_fma_f64 v[10:11], v[170:171], s[42:43], v[6:7]
	v_fma_f64 v[4:5], v[170:171], s[24:25], v[6:7]
	s_delay_alu instid0(VALU_DEP_2)
	v_add_f64 v[10:11], v[10:11], v[14:15]
	v_add_f64 v[14:15], v[12:13], v[8:9]
	v_fma_f64 v[8:9], v[199:200], s[34:35], v[18:19]
	v_add_f64 v[12:13], v[68:69], -v[100:101]
	v_add_f64 v[0:1], v[4:5], v[0:1]
	v_fma_f64 v[4:5], v[193:194], s[8:9], -v[16:17]
	v_mul_f64 v[16:17], v[205:206], s[30:31]
	v_add_f64 v[20:21], v[8:9], v[10:11]
	v_add_f64 v[8:9], v[82:83], v[78:79]
	v_mul_f64 v[28:29], v[12:13], s[2:3]
	v_add_f64 v[2:3], v[4:5], v[2:3]
	v_fma_f64 v[4:5], v[199:200], s[14:15], v[18:19]
	v_fma_f64 v[18:19], v[193:194], s[28:29], v[16:17]
	v_fma_f64 v[16:17], v[193:194], s[28:29], -v[16:17]
	v_fma_f64 v[10:11], v[8:9], s[16:17], v[28:29]
	s_delay_alu instid0(VALU_DEP_4) | instskip(SKIP_1) | instid1(VALU_DEP_3)
	v_add_f64 v[0:1], v[4:5], v[0:1]
	v_fma_f64 v[4:5], v[8:9], s[16:17], -v[28:29]
	v_add_f64 v[22:23], v[10:11], v[14:15]
	v_add_f64 v[14:15], v[68:69], v[100:101]
	v_add_f64 v[10:11], v[82:83], -v[78:79]
	s_delay_alu instid0(VALU_DEP_4) | instskip(NEXT) | instid1(VALU_DEP_3)
	v_add_f64 v[2:3], v[4:5], v[2:3]
	v_mul_f64 v[30:31], v[14:15], s[16:17]
	s_delay_alu instid0(VALU_DEP_1) | instskip(SKIP_1) | instid1(VALU_DEP_2)
	v_fma_f64 v[24:25], v[10:11], s[40:41], v[30:31]
	v_fma_f64 v[4:5], v[10:11], s[2:3], v[30:31]
	v_add_f64 v[32:33], v[24:25], v[20:21]
	v_add_f64 v[24:25], v[88:89], -v[76:77]
	v_add_f64 v[20:21], v[70:71], v[94:95]
	s_delay_alu instid0(VALU_DEP_4) | instskip(NEXT) | instid1(VALU_DEP_3)
	v_add_f64 v[0:1], v[4:5], v[0:1]
	v_mul_f64 v[34:35], v[24:25], s[12:13]
	s_delay_alu instid0(VALU_DEP_1) | instskip(SKIP_1) | instid1(VALU_DEP_2)
	v_fma_f64 v[26:27], v[20:21], s[22:23], v[34:35]
	v_fma_f64 v[4:5], v[20:21], s[22:23], -v[34:35]
	v_add_f64 v[36:37], v[26:27], v[22:23]
	v_add_f64 v[26:27], v[88:89], v[76:77]
	v_add_f64 v[22:23], v[70:71], -v[94:95]
	s_delay_alu instid0(VALU_DEP_4) | instskip(NEXT) | instid1(VALU_DEP_3)
	v_add_f64 v[2:3], v[4:5], v[2:3]
	v_mul_f64 v[38:39], v[26:27], s[22:23]
	s_delay_alu instid0(VALU_DEP_1) | instskip(SKIP_1) | instid1(VALU_DEP_2)
	v_fma_f64 v[41:42], v[22:23], s[38:39], v[38:39]
	v_fma_f64 v[4:5], v[22:23], s[12:13], v[38:39]
	v_add_f64 v[32:33], v[41:42], v[32:33]
	v_add_f64 v[41:42], v[72:73], -v[92:93]
	s_delay_alu instid0(VALU_DEP_3) | instskip(NEXT) | instid1(VALU_DEP_2)
	v_add_f64 v[0:1], v[4:5], v[0:1]
	v_mul_f64 v[45:46], v[41:42], s[30:31]
	s_delay_alu instid0(VALU_DEP_1) | instskip(SKIP_1) | instid1(VALU_DEP_2)
	v_fma_f64 v[48:49], v[43:44], s[28:29], v[45:46]
	v_fma_f64 v[4:5], v[43:44], s[28:29], -v[45:46]
	v_add_f64 v[52:53], v[48:49], v[36:37]
	v_add_f64 v[48:49], v[72:73], v[92:93]
	s_delay_alu instid0(VALU_DEP_3) | instskip(SKIP_1) | instid1(VALU_DEP_3)
	v_add_f64 v[56:57], v[4:5], v[2:3]
	v_mul_f64 v[4:5], v[181:182], s[2:3]
	v_mul_f64 v[36:37], v[48:49], s[28:29]
	s_delay_alu instid0(VALU_DEP_1) | instskip(SKIP_1) | instid1(VALU_DEP_2)
	v_fma_f64 v[6:7], v[50:51], s[30:31], v[36:37]
	v_fma_f64 v[54:55], v[50:51], s[44:45], v[36:37]
	v_add_f64 v[58:59], v[6:7], v[0:1]
	v_fma_f64 v[0:1], v[168:169], s[16:17], v[4:5]
	v_mul_f64 v[6:7], v[183:184], s[16:17]
	v_fma_f64 v[4:5], v[168:169], s[16:17], -v[4:5]
	v_add_f64 v[54:55], v[54:55], v[32:33]
	s_delay_alu instid0(VALU_DEP_4) | instskip(NEXT) | instid1(VALU_DEP_4)
	v_add_f64 v[0:1], v[0:1], v[209:210]
	v_fma_f64 v[2:3], v[170:171], s[40:41], v[6:7]
	s_delay_alu instid0(VALU_DEP_4) | instskip(SKIP_1) | instid1(VALU_DEP_4)
	v_add_f64 v[4:5], v[4:5], v[203:204]
	v_fma_f64 v[6:7], v[170:171], s[2:3], v[6:7]
	v_add_f64 v[0:1], v[18:19], v[0:1]
	v_mul_f64 v[18:19], v[211:212], s[28:29]
	v_add_f64 v[2:3], v[2:3], v[207:208]
	s_delay_alu instid0(VALU_DEP_4) | instskip(SKIP_1) | instid1(VALU_DEP_4)
	v_add_f64 v[6:7], v[6:7], v[201:202]
	v_add_f64 v[4:5], v[16:17], v[4:5]
	v_fma_f64 v[28:29], v[199:200], s[44:45], v[18:19]
	v_fma_f64 v[16:17], v[199:200], s[30:31], v[18:19]
	s_delay_alu instid0(VALU_DEP_2) | instskip(SKIP_1) | instid1(VALU_DEP_3)
	v_add_f64 v[2:3], v[28:29], v[2:3]
	v_mul_f64 v[28:29], v[12:13], s[38:39]
	v_add_f64 v[6:7], v[16:17], v[6:7]
	s_delay_alu instid0(VALU_DEP_2) | instskip(SKIP_2) | instid1(VALU_DEP_3)
	v_fma_f64 v[30:31], v[8:9], s[22:23], v[28:29]
	v_fma_f64 v[16:17], v[8:9], s[22:23], -v[28:29]
	v_mul_f64 v[28:29], v[181:182], s[30:31]
	v_add_f64 v[0:1], v[30:31], v[0:1]
	v_mul_f64 v[30:31], v[14:15], s[22:23]
	s_delay_alu instid0(VALU_DEP_4) | instskip(NEXT) | instid1(VALU_DEP_2)
	v_add_f64 v[4:5], v[16:17], v[4:5]
	v_fma_f64 v[32:33], v[10:11], s[12:13], v[30:31]
	v_fma_f64 v[16:17], v[10:11], s[38:39], v[30:31]
	v_mul_f64 v[30:31], v[183:184], s[28:29]
	s_delay_alu instid0(VALU_DEP_3) | instskip(SKIP_1) | instid1(VALU_DEP_4)
	v_add_f64 v[2:3], v[32:33], v[2:3]
	v_mul_f64 v[32:33], v[24:25], s[34:35]
	v_add_f64 v[6:7], v[16:17], v[6:7]
	s_delay_alu instid0(VALU_DEP_2) | instskip(SKIP_2) | instid1(VALU_DEP_3)
	v_fma_f64 v[34:35], v[20:21], s[8:9], v[32:33]
	v_fma_f64 v[16:17], v[20:21], s[8:9], -v[32:33]
	v_mul_f64 v[32:33], v[205:206], s[40:41]
	v_add_f64 v[0:1], v[34:35], v[0:1]
	v_mul_f64 v[34:35], v[26:27], s[8:9]
	s_delay_alu instid0(VALU_DEP_4) | instskip(NEXT) | instid1(VALU_DEP_2)
	v_add_f64 v[4:5], v[16:17], v[4:5]
	v_fma_f64 v[36:37], v[22:23], s[14:15], v[34:35]
	v_fma_f64 v[16:17], v[22:23], s[34:35], v[34:35]
	;; [unrolled: 1-line block ×3, first 2 shown]
	v_fma_f64 v[32:33], v[193:194], s[16:17], -v[32:33]
	s_delay_alu instid0(VALU_DEP_4) | instskip(SKIP_2) | instid1(VALU_DEP_2)
	v_add_f64 v[2:3], v[36:37], v[2:3]
	v_mul_f64 v[36:37], v[41:42], s[36:37]
	v_add_f64 v[6:7], v[16:17], v[6:7]
	v_fma_f64 v[38:39], v[43:44], s[20:21], v[36:37]
	v_fma_f64 v[16:17], v[43:44], s[20:21], -v[36:37]
	s_delay_alu instid0(VALU_DEP_2) | instskip(SKIP_1) | instid1(VALU_DEP_3)
	v_add_f64 v[0:1], v[38:39], v[0:1]
	v_mul_f64 v[38:39], v[48:49], s[20:21]
	v_add_f64 v[4:5], v[16:17], v[4:5]
	v_fma_f64 v[16:17], v[168:169], s[28:29], v[28:29]
	v_fma_f64 v[28:29], v[168:169], s[28:29], -v[28:29]
	s_delay_alu instid0(VALU_DEP_4) | instskip(SKIP_1) | instid1(VALU_DEP_4)
	v_fma_f64 v[18:19], v[50:51], s[36:37], v[38:39]
	v_fma_f64 v[45:46], v[50:51], s[26:27], v[38:39]
	v_add_f64 v[16:17], v[16:17], v[197:198]
	s_delay_alu instid0(VALU_DEP_4)
	v_add_f64 v[28:29], v[28:29], v[191:192]
	v_mul_f64 v[191:192], v[14:15], s[8:9]
	v_add_f64 v[6:7], v[18:19], v[6:7]
	v_fma_f64 v[18:19], v[170:171], s[44:45], v[30:31]
	v_add_f64 v[16:17], v[34:35], v[16:17]
	v_mul_f64 v[34:35], v[211:212], s[16:17]
	v_add_f64 v[2:3], v[45:46], v[2:3]
	v_fma_f64 v[30:31], v[170:171], s[30:31], v[30:31]
	v_add_f64 v[28:29], v[32:33], v[28:29]
	v_add_f64 v[18:19], v[18:19], v[195:196]
	v_fma_f64 v[36:37], v[199:200], s[2:3], v[34:35]
	v_fma_f64 v[32:33], v[199:200], s[40:41], v[34:35]
	v_add_f64 v[30:31], v[30:31], v[189:190]
	v_mul_f64 v[189:190], v[12:13], s[14:15]
	s_delay_alu instid0(VALU_DEP_4) | instskip(SKIP_1) | instid1(VALU_DEP_4)
	v_add_f64 v[18:19], v[36:37], v[18:19]
	v_mul_f64 v[36:37], v[12:13], s[36:37]
	v_add_f64 v[30:31], v[32:33], v[30:31]
	s_delay_alu instid0(VALU_DEP_2) | instskip(SKIP_1) | instid1(VALU_DEP_2)
	v_fma_f64 v[38:39], v[8:9], s[20:21], v[36:37]
	v_fma_f64 v[32:33], v[8:9], s[20:21], -v[36:37]
	v_add_f64 v[16:17], v[38:39], v[16:17]
	v_mul_f64 v[38:39], v[14:15], s[20:21]
	s_delay_alu instid0(VALU_DEP_3) | instskip(NEXT) | instid1(VALU_DEP_2)
	v_add_f64 v[28:29], v[32:33], v[28:29]
	v_fma_f64 v[45:46], v[10:11], s[26:27], v[38:39]
	v_fma_f64 v[32:33], v[10:11], s[36:37], v[38:39]
	s_delay_alu instid0(VALU_DEP_2) | instskip(SKIP_1) | instid1(VALU_DEP_3)
	v_add_f64 v[18:19], v[45:46], v[18:19]
	v_mul_f64 v[45:46], v[24:25], s[24:25]
	v_add_f64 v[30:31], v[32:33], v[30:31]
	s_delay_alu instid0(VALU_DEP_2) | instskip(SKIP_2) | instid1(VALU_DEP_3)
	v_fma_f64 v[195:196], v[20:21], s[18:19], v[45:46]
	v_fma_f64 v[32:33], v[20:21], s[18:19], -v[45:46]
	v_mul_f64 v[45:46], v[183:184], s[22:23]
	v_add_f64 v[16:17], v[195:196], v[16:17]
	v_mul_f64 v[195:196], v[26:27], s[18:19]
	s_delay_alu instid0(VALU_DEP_4) | instskip(NEXT) | instid1(VALU_DEP_4)
	v_add_f64 v[28:29], v[32:33], v[28:29]
	v_fma_f64 v[36:37], v[170:171], s[12:13], v[45:46]
	v_fma_f64 v[45:46], v[170:171], s[38:39], v[45:46]
	s_delay_alu instid0(VALU_DEP_4) | instskip(SKIP_1) | instid1(VALU_DEP_4)
	v_fma_f64 v[197:198], v[22:23], s[42:43], v[195:196]
	v_fma_f64 v[32:33], v[22:23], s[24:25], v[195:196]
	v_add_f64 v[36:37], v[36:37], v[185:186]
	v_mul_f64 v[185:186], v[205:206], s[36:37]
	v_add_f64 v[45:46], v[45:46], v[176:177]
	v_mul_f64 v[195:196], v[24:25], s[44:45]
	;; [unrolled: 2-line block ×3, first 2 shown]
	v_add_f64 v[32:33], v[32:33], v[30:31]
	v_fma_f64 v[38:39], v[193:194], s[20:21], v[185:186]
	v_fma_f64 v[176:177], v[193:194], s[20:21], -v[185:186]
	v_mul_f64 v[185:186], v[205:206], s[24:25]
	v_fma_f64 v[201:202], v[43:44], s[22:23], v[197:198]
	v_fma_f64 v[30:31], v[43:44], s[22:23], -v[197:198]
	v_mul_f64 v[197:198], v[26:27], s[28:29]
	s_delay_alu instid0(VALU_DEP_3) | instskip(SKIP_1) | instid1(VALU_DEP_4)
	v_add_f64 v[16:17], v[201:202], v[16:17]
	v_mul_f64 v[201:202], v[48:49], s[22:23]
	v_add_f64 v[30:31], v[30:31], v[28:29]
	v_mul_f64 v[28:29], v[181:182], s[38:39]
	s_delay_alu instid0(VALU_DEP_3) | instskip(SKIP_2) | instid1(VALU_DEP_3)
	v_fma_f64 v[34:35], v[50:51], s[12:13], v[201:202]
	v_fma_f64 v[203:204], v[50:51], s[38:39], v[201:202]
	v_mul_f64 v[201:202], v[41:42], s[42:43]
	v_add_f64 v[32:33], v[34:35], v[32:33]
	v_fma_f64 v[34:35], v[168:169], s[22:23], v[28:29]
	v_fma_f64 v[28:29], v[168:169], s[22:23], -v[28:29]
	v_add_f64 v[18:19], v[203:204], v[18:19]
	s_delay_alu instid0(VALU_DEP_3) | instskip(SKIP_1) | instid1(VALU_DEP_4)
	v_add_f64 v[34:35], v[34:35], v[187:188]
	v_mul_f64 v[187:188], v[211:212], s[20:21]
	v_add_f64 v[28:29], v[28:29], v[178:179]
	s_delay_alu instid0(VALU_DEP_3) | instskip(NEXT) | instid1(VALU_DEP_3)
	v_add_f64 v[34:35], v[38:39], v[34:35]
	v_fma_f64 v[38:39], v[199:200], s[26:27], v[187:188]
	s_delay_alu instid0(VALU_DEP_3) | instskip(SKIP_2) | instid1(VALU_DEP_4)
	v_add_f64 v[28:29], v[176:177], v[28:29]
	v_fma_f64 v[176:177], v[199:200], s[36:37], v[187:188]
	v_mul_f64 v[187:188], v[211:212], s[18:19]
	v_add_f64 v[36:37], v[38:39], v[36:37]
	v_fma_f64 v[38:39], v[8:9], s[8:9], v[189:190]
	s_delay_alu instid0(VALU_DEP_4) | instskip(SKIP_2) | instid1(VALU_DEP_4)
	v_add_f64 v[45:46], v[176:177], v[45:46]
	v_fma_f64 v[176:177], v[8:9], s[8:9], -v[189:190]
	v_mul_f64 v[189:190], v[12:13], s[44:45]
	v_add_f64 v[34:35], v[38:39], v[34:35]
	v_fma_f64 v[38:39], v[10:11], s[34:35], v[191:192]
	s_delay_alu instid0(VALU_DEP_4) | instskip(SKIP_2) | instid1(VALU_DEP_4)
	v_add_f64 v[28:29], v[176:177], v[28:29]
	v_fma_f64 v[176:177], v[10:11], s[14:15], v[191:192]
	v_mul_f64 v[191:192], v[14:15], s[28:29]
	v_add_f64 v[36:37], v[38:39], v[36:37]
	v_fma_f64 v[38:39], v[20:21], s[28:29], v[195:196]
	s_delay_alu instid0(VALU_DEP_4)
	v_add_f64 v[45:46], v[176:177], v[45:46]
	v_fma_f64 v[176:177], v[20:21], s[28:29], -v[195:196]
	v_mul_f64 v[195:196], v[24:25], s[36:37]
	v_mul_f64 v[24:25], v[24:25], s[2:3]
	v_add_f64 v[34:35], v[38:39], v[34:35]
	v_fma_f64 v[38:39], v[22:23], s[30:31], v[197:198]
	v_add_f64 v[28:29], v[176:177], v[28:29]
	v_fma_f64 v[176:177], v[22:23], s[44:45], v[197:198]
	v_mul_f64 v[197:198], v[26:27], s[20:21]
	v_mul_f64 v[26:27], v[26:27], s[16:17]
	v_add_f64 v[38:39], v[38:39], v[36:37]
	v_fma_f64 v[36:37], v[43:44], s[18:19], v[201:202]
	v_add_f64 v[45:46], v[176:177], v[45:46]
	v_fma_f64 v[176:177], v[43:44], s[18:19], -v[201:202]
	v_mul_f64 v[201:202], v[41:42], s[2:3]
	v_mul_f64 v[41:42], v[41:42], s[34:35]
	v_add_f64 v[36:37], v[36:37], v[34:35]
	v_mul_f64 v[34:35], v[48:49], s[18:19]
	v_add_f64 v[176:177], v[176:177], v[28:29]
	v_mul_f64 v[28:29], v[181:182], s[34:35]
	s_delay_alu instid0(VALU_DEP_3) | instskip(SKIP_1) | instid1(VALU_DEP_2)
	v_fma_f64 v[203:204], v[50:51], s[24:25], v[34:35]
	v_fma_f64 v[34:35], v[50:51], s[42:43], v[34:35]
	v_add_f64 v[38:39], v[203:204], v[38:39]
	s_delay_alu instid0(VALU_DEP_2) | instskip(SKIP_3) | instid1(VALU_DEP_3)
	v_add_f64 v[178:179], v[34:35], v[45:46]
	v_fma_f64 v[34:35], v[168:169], s[8:9], v[28:29]
	v_mul_f64 v[45:46], v[183:184], s[8:9]
	v_fma_f64 v[28:29], v[168:169], s[8:9], -v[28:29]
	v_add_f64 v[34:35], v[34:35], v[174:175]
	s_delay_alu instid0(VALU_DEP_3) | instskip(SKIP_1) | instid1(VALU_DEP_4)
	v_fma_f64 v[174:175], v[170:171], s[14:15], v[45:46]
	v_fma_f64 v[45:46], v[170:171], s[34:35], v[45:46]
	v_add_f64 v[28:29], v[28:29], v[166:167]
	s_delay_alu instid0(VALU_DEP_3) | instskip(SKIP_1) | instid1(VALU_DEP_4)
	v_add_f64 v[172:173], v[174:175], v[172:173]
	v_fma_f64 v[174:175], v[193:194], s[18:19], v[185:186]
	v_add_f64 v[45:46], v[45:46], v[164:165]
	v_fma_f64 v[164:165], v[193:194], s[18:19], -v[185:186]
	s_delay_alu instid0(VALU_DEP_3) | instskip(SKIP_1) | instid1(VALU_DEP_3)
	v_add_f64 v[34:35], v[174:175], v[34:35]
	v_fma_f64 v[174:175], v[199:200], s[42:43], v[187:188]
	v_add_f64 v[28:29], v[164:165], v[28:29]
	v_fma_f64 v[164:165], v[199:200], s[24:25], v[187:188]
	s_delay_alu instid0(VALU_DEP_3) | instskip(SKIP_1) | instid1(VALU_DEP_3)
	v_add_f64 v[172:173], v[174:175], v[172:173]
	v_fma_f64 v[174:175], v[8:9], s[28:29], v[189:190]
	v_add_f64 v[45:46], v[164:165], v[45:46]
	v_fma_f64 v[164:165], v[8:9], s[28:29], -v[189:190]
	s_delay_alu instid0(VALU_DEP_3) | instskip(SKIP_1) | instid1(VALU_DEP_3)
	v_add_f64 v[34:35], v[174:175], v[34:35]
	v_fma_f64 v[174:175], v[10:11], s[30:31], v[191:192]
	v_add_f64 v[28:29], v[164:165], v[28:29]
	v_fma_f64 v[164:165], v[10:11], s[44:45], v[191:192]
	s_delay_alu instid0(VALU_DEP_3) | instskip(SKIP_1) | instid1(VALU_DEP_3)
	;; [unrolled: 10-line block ×3, first 2 shown]
	v_add_f64 v[174:175], v[174:175], v[172:173]
	v_fma_f64 v[172:173], v[43:44], s[16:17], v[201:202]
	v_add_f64 v[45:46], v[164:165], v[45:46]
	v_fma_f64 v[164:165], v[43:44], s[16:17], -v[201:202]
	s_delay_alu instid0(VALU_DEP_3) | instskip(SKIP_1) | instid1(VALU_DEP_3)
	v_add_f64 v[172:173], v[172:173], v[34:35]
	v_mul_f64 v[34:35], v[48:49], s[16:17]
	v_add_f64 v[164:165], v[164:165], v[28:29]
	v_mul_f64 v[28:29], v[181:182], s[36:37]
	v_mul_f64 v[48:49], v[48:49], s[8:9]
	s_delay_alu instid0(VALU_DEP_4) | instskip(SKIP_1) | instid1(VALU_DEP_2)
	v_fma_f64 v[203:204], v[50:51], s[40:41], v[34:35]
	v_fma_f64 v[34:35], v[50:51], s[2:3], v[34:35]
	v_add_f64 v[174:175], v[203:204], v[174:175]
	s_delay_alu instid0(VALU_DEP_2) | instskip(SKIP_3) | instid1(VALU_DEP_3)
	v_add_f64 v[166:167], v[34:35], v[45:46]
	v_fma_f64 v[34:35], v[168:169], s[20:21], v[28:29]
	v_mul_f64 v[45:46], v[183:184], s[20:21]
	v_fma_f64 v[28:29], v[168:169], s[20:21], -v[28:29]
	v_add_f64 v[34:35], v[34:35], v[162:163]
	s_delay_alu instid0(VALU_DEP_3) | instskip(SKIP_1) | instid1(VALU_DEP_4)
	v_fma_f64 v[162:163], v[170:171], s[26:27], v[45:46]
	v_fma_f64 v[45:46], v[170:171], s[36:37], v[45:46]
	v_add_f64 v[28:29], v[28:29], v[156:157]
	s_delay_alu instid0(VALU_DEP_3) | instskip(SKIP_1) | instid1(VALU_DEP_4)
	v_add_f64 v[160:161], v[162:163], v[160:161]
	v_mul_f64 v[162:163], v[205:206], s[12:13]
	v_add_f64 v[45:46], v[45:46], v[158:159]
	s_delay_alu instid0(VALU_DEP_2) | instskip(NEXT) | instid1(VALU_DEP_1)
	v_fma_f64 v[180:181], v[193:194], s[22:23], v[162:163]
	v_add_f64 v[34:35], v[180:181], v[34:35]
	v_mul_f64 v[180:181], v[211:212], s[22:23]
	s_delay_alu instid0(VALU_DEP_1) | instskip(NEXT) | instid1(VALU_DEP_1)
	v_fma_f64 v[182:183], v[199:200], s[38:39], v[180:181]
	v_add_f64 v[160:161], v[182:183], v[160:161]
	v_mul_f64 v[182:183], v[12:13], s[42:43]
	s_delay_alu instid0(VALU_DEP_1) | instskip(SKIP_1) | instid1(VALU_DEP_2)
	v_fma_f64 v[12:13], v[8:9], s[18:19], v[182:183]
	v_fma_f64 v[8:9], v[8:9], s[18:19], -v[182:183]
	v_add_f64 v[12:13], v[12:13], v[34:35]
	v_mul_f64 v[34:35], v[14:15], s[18:19]
	s_delay_alu instid0(VALU_DEP_1) | instskip(SKIP_1) | instid1(VALU_DEP_2)
	v_fma_f64 v[14:15], v[10:11], s[24:25], v[34:35]
	v_fma_f64 v[10:11], v[10:11], s[42:43], v[34:35]
	v_add_f64 v[14:15], v[14:15], v[160:161]
	v_fma_f64 v[160:161], v[20:21], s[16:17], v[24:25]
	v_fma_f64 v[20:21], v[20:21], s[16:17], -v[24:25]
	v_fma_f64 v[24:25], v[43:44], s[8:9], -v[41:42]
	s_delay_alu instid0(VALU_DEP_3) | instskip(SKIP_3) | instid1(VALU_DEP_3)
	v_add_f64 v[12:13], v[160:161], v[12:13]
	v_fma_f64 v[160:161], v[22:23], s[40:41], v[26:27]
	v_fma_f64 v[22:23], v[22:23], s[2:3], v[26:27]
	;; [unrolled: 1-line block ×3, first 2 shown]
	v_add_f64 v[14:15], v[160:161], v[14:15]
	v_fma_f64 v[160:161], v[43:44], s[8:9], v[41:42]
	s_delay_alu instid0(VALU_DEP_1) | instskip(SKIP_1) | instid1(VALU_DEP_1)
	v_add_f64 v[12:13], v[160:161], v[12:13]
	v_fma_f64 v[160:161], v[50:51], s[14:15], v[48:49]
	v_add_f64 v[14:15], v[160:161], v[14:15]
	v_fma_f64 v[160:161], v[193:194], s[22:23], -v[162:163]
	v_fma_f64 v[162:163], v[199:200], s[12:13], v[180:181]
	s_delay_alu instid0(VALU_DEP_2) | instskip(NEXT) | instid1(VALU_DEP_2)
	v_add_f64 v[28:29], v[160:161], v[28:29]
	v_add_f64 v[34:35], v[162:163], v[45:46]
	s_delay_alu instid0(VALU_DEP_2) | instskip(NEXT) | instid1(VALU_DEP_2)
	v_add_f64 v[8:9], v[8:9], v[28:29]
	v_add_f64 v[10:11], v[10:11], v[34:35]
	;; [unrolled: 3-line block ×3, first 2 shown]
	v_add_f64 v[20:21], v[98:99], v[148:149]
	v_add_f64 v[22:23], v[154:155], v[150:151]
	s_delay_alu instid0(VALU_DEP_4) | instskip(NEXT) | instid1(VALU_DEP_4)
	v_add_f64 v[8:9], v[24:25], v[8:9]
	v_add_f64 v[10:11], v[26:27], v[10:11]
	s_delay_alu instid0(VALU_DEP_4) | instskip(NEXT) | instid1(VALU_DEP_4)
	v_add_f64 v[20:21], v[20:21], v[152:153]
	v_add_f64 v[22:23], v[22:23], v[80:81]
	s_delay_alu instid0(VALU_DEP_2) | instskip(NEXT) | instid1(VALU_DEP_2)
	v_add_f64 v[20:21], v[20:21], v[82:83]
	v_add_f64 v[22:23], v[22:23], v[68:69]
	s_delay_alu instid0(VALU_DEP_2) | instskip(NEXT) | instid1(VALU_DEP_2)
	;; [unrolled: 3-line block ×9, first 2 shown]
	v_add_f64 v[20:21], v[20:21], v[96:97]
	v_add_f64 v[22:23], v[22:23], v[106:107]
	ds_store_b128 v40, v[0:3] offset:416
	ds_store_b128 v40, v[16:19] offset:624
	;; [unrolled: 1-line block ×12, first 2 shown]
	ds_store_b128 v40, v[20:23]
	s_waitcnt lgkmcnt(0)
	s_barrier
	buffer_gl0_inv
	ds_load_b128 v[0:3], v47 offset:2704
	ds_load_b128 v[4:7], v47
	s_waitcnt lgkmcnt(1)
	v_mul_f64 v[8:9], v[66:67], v[2:3]
	s_delay_alu instid0(VALU_DEP_1) | instskip(SKIP_2) | instid1(VALU_DEP_2)
	v_fma_f64 v[12:13], v[64:65], v[0:1], v[8:9]
	v_mul_f64 v[0:1], v[66:67], v[0:1]
	s_waitcnt lgkmcnt(0)
	v_add_f64 v[96:97], v[4:5], v[12:13]
	s_delay_alu instid0(VALU_DEP_2)
	v_fma_f64 v[14:15], v[64:65], v[2:3], -v[0:1]
	ds_load_b128 v[0:3], v47 offset:5408
	ds_load_b128 v[8:11], v47 offset:8112
	s_waitcnt lgkmcnt(1)
	v_mul_f64 v[16:17], v[62:63], v[2:3]
	v_add_f64 v[98:99], v[6:7], v[14:15]
	s_delay_alu instid0(VALU_DEP_2) | instskip(SKIP_1) | instid1(VALU_DEP_1)
	v_fma_f64 v[52:53], v[60:61], v[0:1], v[16:17]
	v_mul_f64 v[0:1], v[62:63], v[0:1]
	v_fma_f64 v[54:55], v[60:61], v[2:3], -v[0:1]
	s_waitcnt lgkmcnt(0)
	v_mul_f64 v[0:1], v[122:123], v[10:11]
	s_delay_alu instid0(VALU_DEP_1) | instskip(SKIP_1) | instid1(VALU_DEP_1)
	v_fma_f64 v[56:57], v[120:121], v[8:9], v[0:1]
	v_mul_f64 v[0:1], v[122:123], v[8:9]
	v_fma_f64 v[58:59], v[120:121], v[10:11], -v[0:1]
	ds_load_b128 v[0:3], v47 offset:10816
	ds_load_b128 v[8:11], v47 offset:13520
	s_waitcnt lgkmcnt(1)
	v_mul_f64 v[16:17], v[110:111], v[2:3]
	s_delay_alu instid0(VALU_DEP_1) | instskip(SKIP_1) | instid1(VALU_DEP_1)
	v_fma_f64 v[60:61], v[108:109], v[0:1], v[16:17]
	v_mul_f64 v[0:1], v[110:111], v[0:1]
	v_fma_f64 v[62:63], v[108:109], v[2:3], -v[0:1]
	s_waitcnt lgkmcnt(0)
	v_mul_f64 v[0:1], v[130:131], v[10:11]
	s_delay_alu instid0(VALU_DEP_1) | instskip(SKIP_1) | instid1(VALU_DEP_1)
	v_fma_f64 v[64:65], v[128:129], v[8:9], v[0:1]
	v_mul_f64 v[0:1], v[130:131], v[8:9]
	v_fma_f64 v[66:67], v[128:129], v[10:11], -v[0:1]
	ds_load_b128 v[0:3], v47 offset:16224
	ds_load_b128 v[8:11], v47 offset:18928
	s_waitcnt lgkmcnt(1)
	v_mul_f64 v[16:17], v[114:115], v[2:3]
	s_delay_alu instid0(VALU_DEP_1) | instskip(SKIP_1) | instid1(VALU_DEP_1)
	v_fma_f64 v[68:69], v[112:113], v[0:1], v[16:17]
	v_mul_f64 v[0:1], v[114:115], v[0:1]
	v_fma_f64 v[70:71], v[112:113], v[2:3], -v[0:1]
	s_waitcnt lgkmcnt(0)
	v_mul_f64 v[0:1], v[134:135], v[10:11]
	s_delay_alu instid0(VALU_DEP_1) | instskip(SKIP_1) | instid1(VALU_DEP_1)
	v_fma_f64 v[72:73], v[132:133], v[8:9], v[0:1]
	v_mul_f64 v[0:1], v[134:135], v[8:9]
	v_fma_f64 v[74:75], v[132:133], v[10:11], -v[0:1]
	ds_load_b128 v[0:3], v47 offset:21632
	ds_load_b128 v[8:11], v47 offset:24336
	s_waitcnt lgkmcnt(1)
	v_mul_f64 v[16:17], v[118:119], v[2:3]
	s_delay_alu instid0(VALU_DEP_1) | instskip(SKIP_1) | instid1(VALU_DEP_1)
	v_fma_f64 v[76:77], v[116:117], v[0:1], v[16:17]
	v_mul_f64 v[0:1], v[118:119], v[0:1]
	v_fma_f64 v[78:79], v[116:117], v[2:3], -v[0:1]
	s_waitcnt lgkmcnt(0)
	v_mul_f64 v[0:1], v[142:143], v[10:11]
	s_delay_alu instid0(VALU_DEP_1) | instskip(SKIP_1) | instid1(VALU_DEP_2)
	v_fma_f64 v[80:81], v[140:141], v[8:9], v[0:1]
	v_mul_f64 v[0:1], v[142:143], v[8:9]
	v_add_f64 v[152:153], v[60:61], v[80:81]
	s_delay_alu instid0(VALU_DEP_2)
	v_fma_f64 v[82:83], v[140:141], v[10:11], -v[0:1]
	ds_load_b128 v[0:3], v47 offset:27040
	ds_load_b128 v[8:11], v47 offset:29744
	v_add_f64 v[158:159], v[60:61], -v[80:81]
	s_waitcnt lgkmcnt(1)
	v_mul_f64 v[16:17], v[126:127], v[2:3]
	v_add_f64 v[160:161], v[62:63], -v[82:83]
	v_add_f64 v[162:163], v[62:63], v[82:83]
	s_delay_alu instid0(VALU_DEP_3) | instskip(SKIP_1) | instid1(VALU_DEP_2)
	v_fma_f64 v[84:85], v[124:125], v[0:1], v[16:17]
	v_mul_f64 v[0:1], v[126:127], v[0:1]
	v_add_f64 v[128:129], v[56:57], v[84:85]
	s_delay_alu instid0(VALU_DEP_2) | instskip(SKIP_3) | instid1(VALU_DEP_2)
	v_fma_f64 v[86:87], v[124:125], v[2:3], -v[0:1]
	s_waitcnt lgkmcnt(0)
	v_mul_f64 v[0:1], v[146:147], v[10:11]
	v_add_f64 v[130:131], v[56:57], -v[84:85]
	v_fma_f64 v[88:89], v[144:145], v[8:9], v[0:1]
	v_mul_f64 v[0:1], v[146:147], v[8:9]
	v_add_f64 v[146:147], v[58:59], v[86:87]
	s_delay_alu instid0(VALU_DEP_2)
	v_fma_f64 v[90:91], v[144:145], v[10:11], -v[0:1]
	ds_load_b128 v[0:3], v47 offset:32448
	v_add_f64 v[144:145], v[58:59], -v[86:87]
	s_waitcnt lgkmcnt(0)
	v_mul_f64 v[8:9], v[138:139], v[0:1]
	v_add_f64 v[120:121], v[54:55], -v[90:91]
	v_add_f64 v[122:123], v[54:55], v[90:91]
	s_delay_alu instid0(VALU_DEP_3) | instskip(SKIP_1) | instid1(VALU_DEP_1)
	v_fma_f64 v[92:93], v[136:137], v[2:3], -v[8:9]
	v_mul_f64 v[2:3], v[138:139], v[2:3]
	v_fma_f64 v[94:95], v[136:137], v[0:1], v[2:3]
	s_delay_alu instid0(VALU_DEP_3) | instskip(NEXT) | instid1(VALU_DEP_2)
	v_add_f64 v[0:1], v[14:15], -v[92:93]
	v_add_f64 v[20:21], v[12:13], v[94:95]
	s_delay_alu instid0(VALU_DEP_2)
	v_mul_f64 v[2:3], v[0:1], s[26:27]
	v_mul_f64 v[8:9], v[0:1], s[24:25]
	;; [unrolled: 1-line block ×6, first 2 shown]
	v_add_f64 v[44:45], v[12:13], -v[94:95]
	v_fma_f64 v[22:23], v[20:21], s[20:21], v[2:3]
	v_fma_f64 v[2:3], v[20:21], s[20:21], -v[2:3]
	v_fma_f64 v[24:25], v[20:21], s[18:19], v[8:9]
	v_fma_f64 v[8:9], v[20:21], s[18:19], -v[8:9]
	;; [unrolled: 2-line block ×6, first 2 shown]
	v_add_f64 v[0:1], v[14:15], v[92:93]
	v_add_f64 v[12:13], v[4:5], v[22:23]
	;; [unrolled: 1-line block ×12, first 2 shown]
	v_mul_f64 v[24:25], v[160:161], s[2:3]
	v_mul_f64 v[38:39], v[0:1], s[8:9]
	v_mul_f64 v[42:43], v[0:1], s[22:23]
	v_mul_f64 v[34:35], v[0:1], s[20:21]
	v_mul_f64 v[36:37], v[0:1], s[18:19]
	v_mul_f64 v[40:41], v[0:1], s[16:17]
	v_mul_f64 v[0:1], v[0:1], s[28:29]
	v_mul_f64 v[26:27], v[162:163], s[16:17]
	v_fma_f64 v[100:101], v[44:45], s[34:35], v[38:39]
	v_fma_f64 v[104:105], v[44:45], s[38:39], v[42:43]
	;; [unrolled: 1-line block ×12, first 2 shown]
	v_add_f64 v[140:141], v[6:7], v[100:101]
	v_add_f64 v[116:117], v[6:7], v[104:105]
	;; [unrolled: 1-line block ×4, first 2 shown]
	v_mul_f64 v[4:5], v[120:121], s[24:25]
	v_add_f64 v[14:15], v[6:7], v[48:49]
	v_add_f64 v[0:1], v[6:7], v[34:35]
	;; [unrolled: 1-line block ×10, first 2 shown]
	v_add_f64 v[106:107], v[52:53], -v[88:89]
	v_add_f64 v[34:35], v[70:71], -v[74:75]
	v_add_f64 v[42:43], v[70:71], v[74:75]
	v_add_f64 v[40:41], v[68:69], v[72:73]
	v_add_f64 v[44:45], v[68:69], -v[72:73]
	v_fma_f64 v[6:7], v[104:105], s[18:19], v[4:5]
	v_fma_f64 v[4:5], v[104:105], s[18:19], -v[4:5]
	v_mul_f64 v[36:37], v[34:35], s[30:31]
	v_mul_f64 v[38:39], v[42:43], s[28:29]
	s_delay_alu instid0(VALU_DEP_4) | instskip(SKIP_2) | instid1(VALU_DEP_2)
	v_add_f64 v[10:11], v[6:7], v[12:13]
	v_mul_f64 v[6:7], v[122:123], s[18:19]
	v_add_f64 v[2:3], v[4:5], v[2:3]
	v_fma_f64 v[8:9], v[106:107], s[42:43], v[6:7]
	v_fma_f64 v[4:5], v[106:107], s[24:25], v[6:7]
	;; [unrolled: 1-line block ×3, first 2 shown]
	s_delay_alu instid0(VALU_DEP_3) | instskip(SKIP_1) | instid1(VALU_DEP_4)
	v_add_f64 v[12:13], v[8:9], v[14:15]
	v_mul_f64 v[8:9], v[144:145], s[14:15]
	v_add_f64 v[0:1], v[4:5], v[0:1]
	s_delay_alu instid0(VALU_DEP_2) | instskip(SKIP_2) | instid1(VALU_DEP_3)
	v_fma_f64 v[14:15], v[128:129], s[8:9], v[8:9]
	v_fma_f64 v[4:5], v[128:129], s[8:9], -v[8:9]
	v_mul_f64 v[8:9], v[120:121], s[2:3]
	v_add_f64 v[14:15], v[14:15], v[10:11]
	v_mul_f64 v[10:11], v[146:147], s[8:9]
	s_delay_alu instid0(VALU_DEP_4) | instskip(NEXT) | instid1(VALU_DEP_2)
	v_add_f64 v[2:3], v[4:5], v[2:3]
	v_fma_f64 v[16:17], v[130:131], s[34:35], v[10:11]
	v_fma_f64 v[4:5], v[130:131], s[14:15], v[10:11]
	v_mul_f64 v[10:11], v[122:123], s[16:17]
	s_delay_alu instid0(VALU_DEP_3) | instskip(SKIP_1) | instid1(VALU_DEP_4)
	v_add_f64 v[12:13], v[16:17], v[12:13]
	v_fma_f64 v[16:17], v[152:153], s[16:17], v[24:25]
	v_add_f64 v[0:1], v[4:5], v[0:1]
	v_fma_f64 v[4:5], v[152:153], s[16:17], -v[24:25]
	v_mul_f64 v[24:25], v[144:145], s[30:31]
	s_delay_alu instid0(VALU_DEP_4) | instskip(SKIP_1) | instid1(VALU_DEP_4)
	v_add_f64 v[14:15], v[16:17], v[14:15]
	v_fma_f64 v[16:17], v[158:159], s[40:41], v[26:27]
	v_add_f64 v[2:3], v[4:5], v[2:3]
	v_fma_f64 v[4:5], v[158:159], s[2:3], v[26:27]
	v_fma_f64 v[26:27], v[128:129], s[28:29], v[24:25]
	v_fma_f64 v[24:25], v[128:129], s[28:29], -v[24:25]
	v_add_f64 v[20:21], v[16:17], v[12:13]
	v_add_f64 v[16:17], v[66:67], -v[78:79]
	v_add_f64 v[12:13], v[64:65], v[76:77]
	v_add_f64 v[0:1], v[4:5], v[0:1]
	s_delay_alu instid0(VALU_DEP_3) | instskip(NEXT) | instid1(VALU_DEP_1)
	v_mul_f64 v[28:29], v[16:17], s[12:13]
	v_fma_f64 v[18:19], v[12:13], s[22:23], v[28:29]
	v_fma_f64 v[4:5], v[12:13], s[22:23], -v[28:29]
	s_delay_alu instid0(VALU_DEP_2) | instskip(SKIP_2) | instid1(VALU_DEP_4)
	v_add_f64 v[22:23], v[18:19], v[14:15]
	v_add_f64 v[18:19], v[66:67], v[78:79]
	v_add_f64 v[14:15], v[64:65], -v[76:77]
	v_add_f64 v[2:3], v[4:5], v[2:3]
	s_delay_alu instid0(VALU_DEP_3) | instskip(NEXT) | instid1(VALU_DEP_1)
	v_mul_f64 v[30:31], v[18:19], s[22:23]
	v_fma_f64 v[4:5], v[14:15], s[12:13], v[30:31]
	v_fma_f64 v[32:33], v[14:15], s[38:39], v[30:31]
	s_delay_alu instid0(VALU_DEP_2) | instskip(SKIP_1) | instid1(VALU_DEP_3)
	v_add_f64 v[4:5], v[4:5], v[0:1]
	v_fma_f64 v[0:1], v[40:41], s[28:29], -v[36:37]
	v_add_f64 v[32:33], v[32:33], v[20:21]
	v_fma_f64 v[20:21], v[40:41], s[28:29], v[36:37]
	s_delay_alu instid0(VALU_DEP_3)
	v_add_f64 v[0:1], v[0:1], v[2:3]
	v_add_f64 v[2:3], v[6:7], v[4:5]
	v_fma_f64 v[4:5], v[104:105], s[16:17], v[8:9]
	v_fma_f64 v[6:7], v[106:107], s[40:41], v[10:11]
	v_add_f64 v[20:21], v[20:21], v[22:23]
	v_fma_f64 v[22:23], v[44:45], s[44:45], v[38:39]
	v_fma_f64 v[8:9], v[104:105], s[16:17], -v[8:9]
	v_fma_f64 v[10:11], v[106:107], s[2:3], v[10:11]
	v_add_f64 v[4:5], v[4:5], v[156:157]
	v_add_f64 v[6:7], v[6:7], v[154:155]
	;; [unrolled: 1-line block ×6, first 2 shown]
	v_mul_f64 v[26:27], v[146:147], s[28:29]
	s_delay_alu instid0(VALU_DEP_4) | instskip(NEXT) | instid1(VALU_DEP_2)
	v_add_f64 v[8:9], v[24:25], v[8:9]
	v_fma_f64 v[28:29], v[130:131], s[44:45], v[26:27]
	v_fma_f64 v[24:25], v[130:131], s[30:31], v[26:27]
	s_delay_alu instid0(VALU_DEP_2) | instskip(SKIP_1) | instid1(VALU_DEP_3)
	v_add_f64 v[6:7], v[28:29], v[6:7]
	v_mul_f64 v[28:29], v[160:161], s[38:39]
	v_add_f64 v[10:11], v[24:25], v[10:11]
	s_delay_alu instid0(VALU_DEP_2) | instskip(SKIP_2) | instid1(VALU_DEP_3)
	v_fma_f64 v[30:31], v[152:153], s[22:23], v[28:29]
	v_fma_f64 v[24:25], v[152:153], s[22:23], -v[28:29]
	v_mul_f64 v[28:29], v[120:121], s[30:31]
	v_add_f64 v[4:5], v[30:31], v[4:5]
	v_mul_f64 v[30:31], v[162:163], s[22:23]
	s_delay_alu instid0(VALU_DEP_4) | instskip(NEXT) | instid1(VALU_DEP_2)
	v_add_f64 v[8:9], v[24:25], v[8:9]
	v_fma_f64 v[32:33], v[158:159], s[12:13], v[30:31]
	v_fma_f64 v[24:25], v[158:159], s[38:39], v[30:31]
	v_mul_f64 v[30:31], v[122:123], s[28:29]
	s_delay_alu instid0(VALU_DEP_3) | instskip(SKIP_1) | instid1(VALU_DEP_4)
	v_add_f64 v[6:7], v[32:33], v[6:7]
	v_mul_f64 v[32:33], v[16:17], s[34:35]
	v_add_f64 v[10:11], v[24:25], v[10:11]
	s_delay_alu instid0(VALU_DEP_2) | instskip(SKIP_2) | instid1(VALU_DEP_3)
	v_fma_f64 v[36:37], v[12:13], s[8:9], v[32:33]
	v_fma_f64 v[24:25], v[12:13], s[8:9], -v[32:33]
	v_mul_f64 v[32:33], v[144:145], s[40:41]
	v_add_f64 v[4:5], v[36:37], v[4:5]
	v_mul_f64 v[36:37], v[18:19], s[8:9]
	s_delay_alu instid0(VALU_DEP_4) | instskip(NEXT) | instid1(VALU_DEP_2)
	v_add_f64 v[8:9], v[24:25], v[8:9]
	v_fma_f64 v[38:39], v[14:15], s[14:15], v[36:37]
	v_fma_f64 v[24:25], v[14:15], s[34:35], v[36:37]
	;; [unrolled: 1-line block ×3, first 2 shown]
	v_fma_f64 v[32:33], v[128:129], s[16:17], -v[32:33]
	s_delay_alu instid0(VALU_DEP_4) | instskip(SKIP_2) | instid1(VALU_DEP_2)
	v_add_f64 v[6:7], v[38:39], v[6:7]
	v_mul_f64 v[38:39], v[34:35], s[36:37]
	v_add_f64 v[10:11], v[24:25], v[10:11]
	v_fma_f64 v[48:49], v[40:41], s[20:21], v[38:39]
	v_fma_f64 v[24:25], v[40:41], s[20:21], -v[38:39]
	s_delay_alu instid0(VALU_DEP_2) | instskip(SKIP_1) | instid1(VALU_DEP_3)
	v_add_f64 v[4:5], v[48:49], v[4:5]
	v_mul_f64 v[48:49], v[42:43], s[20:21]
	v_add_f64 v[8:9], v[24:25], v[8:9]
	v_fma_f64 v[24:25], v[104:105], s[28:29], v[28:29]
	v_fma_f64 v[28:29], v[104:105], s[28:29], -v[28:29]
	s_delay_alu instid0(VALU_DEP_4) | instskip(SKIP_1) | instid1(VALU_DEP_4)
	v_fma_f64 v[26:27], v[44:45], s[36:37], v[48:49]
	v_fma_f64 v[50:51], v[44:45], s[26:27], v[48:49]
	v_add_f64 v[24:25], v[24:25], v[142:143]
	s_delay_alu instid0(VALU_DEP_4) | instskip(NEXT) | instid1(VALU_DEP_4)
	v_add_f64 v[28:29], v[28:29], v[138:139]
	v_add_f64 v[10:11], v[26:27], v[10:11]
	v_fma_f64 v[26:27], v[106:107], s[44:45], v[30:31]
	s_delay_alu instid0(VALU_DEP_4)
	v_add_f64 v[24:25], v[36:37], v[24:25]
	v_mul_f64 v[36:37], v[146:147], s[16:17]
	v_add_f64 v[6:7], v[50:51], v[6:7]
	v_fma_f64 v[30:31], v[106:107], s[30:31], v[30:31]
	v_add_f64 v[28:29], v[32:33], v[28:29]
	v_add_f64 v[26:27], v[26:27], v[140:141]
	v_fma_f64 v[38:39], v[130:131], s[2:3], v[36:37]
	v_fma_f64 v[32:33], v[130:131], s[40:41], v[36:37]
	v_add_f64 v[30:31], v[30:31], v[136:137]
	s_delay_alu instid0(VALU_DEP_3) | instskip(SKIP_1) | instid1(VALU_DEP_3)
	v_add_f64 v[26:27], v[38:39], v[26:27]
	v_mul_f64 v[38:39], v[160:161], s[36:37]
	v_add_f64 v[30:31], v[32:33], v[30:31]
	s_delay_alu instid0(VALU_DEP_2) | instskip(SKIP_1) | instid1(VALU_DEP_2)
	v_fma_f64 v[48:49], v[152:153], s[20:21], v[38:39]
	v_fma_f64 v[32:33], v[152:153], s[20:21], -v[38:39]
	v_add_f64 v[24:25], v[48:49], v[24:25]
	v_mul_f64 v[48:49], v[162:163], s[20:21]
	s_delay_alu instid0(VALU_DEP_3) | instskip(NEXT) | instid1(VALU_DEP_2)
	v_add_f64 v[28:29], v[32:33], v[28:29]
	v_fma_f64 v[50:51], v[158:159], s[26:27], v[48:49]
	v_fma_f64 v[32:33], v[158:159], s[36:37], v[48:49]
	v_mul_f64 v[48:49], v[122:123], s[22:23]
	s_delay_alu instid0(VALU_DEP_3) | instskip(SKIP_1) | instid1(VALU_DEP_4)
	v_add_f64 v[26:27], v[50:51], v[26:27]
	v_mul_f64 v[50:51], v[16:17], s[24:25]
	v_add_f64 v[30:31], v[32:33], v[30:31]
	s_delay_alu instid0(VALU_DEP_4) | instskip(SKIP_1) | instid1(VALU_DEP_4)
	v_fma_f64 v[38:39], v[106:107], s[12:13], v[48:49]
	v_fma_f64 v[48:49], v[106:107], s[38:39], v[48:49]
	;; [unrolled: 1-line block ×3, first 2 shown]
	v_fma_f64 v[32:33], v[12:13], s[18:19], -v[50:51]
	v_mul_f64 v[50:51], v[144:145], s[36:37]
	v_add_f64 v[38:39], v[38:39], v[132:133]
	v_add_f64 v[48:49], v[48:49], v[124:125]
	;; [unrolled: 1-line block ×3, first 2 shown]
	v_mul_f64 v[140:141], v[18:19], s[18:19]
	v_add_f64 v[28:29], v[32:33], v[28:29]
	v_fma_f64 v[132:133], v[128:129], s[20:21], v[50:51]
	v_fma_f64 v[50:51], v[128:129], s[20:21], -v[50:51]
	s_delay_alu instid0(VALU_DEP_4) | instskip(SKIP_1) | instid1(VALU_DEP_2)
	v_fma_f64 v[142:143], v[14:15], s[42:43], v[140:141]
	v_fma_f64 v[32:33], v[14:15], s[24:25], v[140:141]
	v_add_f64 v[26:27], v[142:143], v[26:27]
	v_mul_f64 v[142:143], v[34:35], s[12:13]
	s_delay_alu instid0(VALU_DEP_3) | instskip(NEXT) | instid1(VALU_DEP_2)
	v_add_f64 v[30:31], v[32:33], v[30:31]
	v_fma_f64 v[148:149], v[40:41], s[22:23], v[142:143]
	v_fma_f64 v[32:33], v[40:41], s[22:23], -v[142:143]
	s_delay_alu instid0(VALU_DEP_2) | instskip(SKIP_1) | instid1(VALU_DEP_3)
	v_add_f64 v[24:25], v[148:149], v[24:25]
	v_mul_f64 v[148:149], v[42:43], s[22:23]
	v_add_f64 v[28:29], v[32:33], v[28:29]
	v_mul_f64 v[32:33], v[120:121], s[38:39]
	s_delay_alu instid0(VALU_DEP_3) | instskip(SKIP_1) | instid1(VALU_DEP_2)
	v_fma_f64 v[36:37], v[44:45], s[12:13], v[148:149]
	v_fma_f64 v[150:151], v[44:45], s[38:39], v[148:149]
	v_add_f64 v[30:31], v[36:37], v[30:31]
	s_delay_alu instid0(VALU_DEP_4) | instskip(SKIP_1) | instid1(VALU_DEP_4)
	v_fma_f64 v[36:37], v[104:105], s[22:23], v[32:33]
	v_fma_f64 v[32:33], v[104:105], s[22:23], -v[32:33]
	v_add_f64 v[26:27], v[150:151], v[26:27]
	s_delay_alu instid0(VALU_DEP_3) | instskip(NEXT) | instid1(VALU_DEP_3)
	v_add_f64 v[36:37], v[36:37], v[134:135]
	v_add_f64 v[32:33], v[32:33], v[126:127]
	s_delay_alu instid0(VALU_DEP_2) | instskip(SKIP_1) | instid1(VALU_DEP_3)
	v_add_f64 v[36:37], v[132:133], v[36:37]
	v_mul_f64 v[132:133], v[146:147], s[20:21]
	v_add_f64 v[32:33], v[50:51], v[32:33]
	s_delay_alu instid0(VALU_DEP_2) | instskip(SKIP_2) | instid1(VALU_DEP_3)
	v_fma_f64 v[134:135], v[130:131], s[26:27], v[132:133]
	v_fma_f64 v[50:51], v[130:131], s[36:37], v[132:133]
	v_mul_f64 v[132:133], v[144:145], s[24:25]
	v_add_f64 v[38:39], v[134:135], v[38:39]
	v_mul_f64 v[134:135], v[160:161], s[14:15]
	s_delay_alu instid0(VALU_DEP_4) | instskip(NEXT) | instid1(VALU_DEP_2)
	v_add_f64 v[48:49], v[50:51], v[48:49]
	v_fma_f64 v[136:137], v[152:153], s[8:9], v[134:135]
	v_fma_f64 v[50:51], v[152:153], s[8:9], -v[134:135]
	v_mul_f64 v[134:135], v[146:147], s[18:19]
	s_delay_alu instid0(VALU_DEP_3) | instskip(SKIP_1) | instid1(VALU_DEP_4)
	v_add_f64 v[36:37], v[136:137], v[36:37]
	v_mul_f64 v[136:137], v[162:163], s[8:9]
	v_add_f64 v[32:33], v[50:51], v[32:33]
	s_delay_alu instid0(VALU_DEP_2) | instskip(SKIP_2) | instid1(VALU_DEP_3)
	v_fma_f64 v[138:139], v[158:159], s[34:35], v[136:137]
	v_fma_f64 v[50:51], v[158:159], s[14:15], v[136:137]
	v_mul_f64 v[136:137], v[160:161], s[44:45]
	v_add_f64 v[38:39], v[138:139], v[38:39]
	v_mul_f64 v[138:139], v[16:17], s[44:45]
	s_delay_alu instid0(VALU_DEP_4) | instskip(NEXT) | instid1(VALU_DEP_2)
	v_add_f64 v[48:49], v[50:51], v[48:49]
	v_fma_f64 v[140:141], v[12:13], s[28:29], v[138:139]
	v_fma_f64 v[50:51], v[12:13], s[28:29], -v[138:139]
	v_mul_f64 v[138:139], v[162:163], s[28:29]
	s_delay_alu instid0(VALU_DEP_3) | instskip(SKIP_1) | instid1(VALU_DEP_4)
	;; [unrolled: 15-line block ×3, first 2 shown]
	v_add_f64 v[36:37], v[148:149], v[36:37]
	v_mul_f64 v[148:149], v[42:43], s[18:19]
	v_add_f64 v[124:125], v[50:51], v[32:33]
	v_mul_f64 v[32:33], v[120:121], s[34:35]
	v_mul_f64 v[50:51], v[122:123], s[8:9]
	s_delay_alu instid0(VALU_DEP_4) | instskip(SKIP_3) | instid1(VALU_DEP_4)
	v_fma_f64 v[126:127], v[44:45], s[42:43], v[148:149]
	v_fma_f64 v[150:151], v[44:45], s[24:25], v[148:149]
	v_mul_f64 v[148:149], v[34:35], s[2:3]
	v_mul_f64 v[34:35], v[34:35], s[34:35]
	v_add_f64 v[126:127], v[126:127], v[48:49]
	v_fma_f64 v[48:49], v[104:105], s[8:9], v[32:33]
	v_fma_f64 v[32:33], v[104:105], s[8:9], -v[32:33]
	v_add_f64 v[38:39], v[150:151], v[38:39]
	s_delay_alu instid0(VALU_DEP_3) | instskip(SKIP_3) | instid1(VALU_DEP_3)
	v_add_f64 v[48:49], v[48:49], v[118:119]
	v_fma_f64 v[118:119], v[106:107], s[14:15], v[50:51]
	v_fma_f64 v[50:51], v[106:107], s[34:35], v[50:51]
	v_add_f64 v[32:33], v[32:33], v[114:115]
	v_add_f64 v[116:117], v[118:119], v[116:117]
	v_fma_f64 v[118:119], v[128:129], s[18:19], v[132:133]
	s_delay_alu instid0(VALU_DEP_4) | instskip(SKIP_1) | instid1(VALU_DEP_3)
	v_add_f64 v[50:51], v[50:51], v[112:113]
	v_fma_f64 v[112:113], v[128:129], s[18:19], -v[132:133]
	v_add_f64 v[48:49], v[118:119], v[48:49]
	v_fma_f64 v[118:119], v[130:131], s[42:43], v[134:135]
	s_delay_alu instid0(VALU_DEP_3) | instskip(SKIP_1) | instid1(VALU_DEP_3)
	v_add_f64 v[32:33], v[112:113], v[32:33]
	v_fma_f64 v[112:113], v[130:131], s[24:25], v[134:135]
	v_add_f64 v[116:117], v[118:119], v[116:117]
	v_fma_f64 v[118:119], v[152:153], s[28:29], v[136:137]
	s_delay_alu instid0(VALU_DEP_3) | instskip(SKIP_1) | instid1(VALU_DEP_3)
	v_add_f64 v[50:51], v[112:113], v[50:51]
	v_fma_f64 v[112:113], v[152:153], s[28:29], -v[136:137]
	v_add_f64 v[48:49], v[118:119], v[48:49]
	v_fma_f64 v[118:119], v[158:159], s[30:31], v[138:139]
	s_delay_alu instid0(VALU_DEP_3) | instskip(SKIP_1) | instid1(VALU_DEP_3)
	v_add_f64 v[32:33], v[112:113], v[32:33]
	v_fma_f64 v[112:113], v[158:159], s[44:45], v[138:139]
	v_add_f64 v[116:117], v[118:119], v[116:117]
	v_fma_f64 v[118:119], v[12:13], s[20:21], v[140:141]
	s_delay_alu instid0(VALU_DEP_3) | instskip(SKIP_1) | instid1(VALU_DEP_3)
	;; [unrolled: 10-line block ×3, first 2 shown]
	v_add_f64 v[50:51], v[112:113], v[50:51]
	v_fma_f64 v[112:113], v[40:41], s[16:17], -v[148:149]
	v_add_f64 v[116:117], v[116:117], v[48:49]
	v_mul_f64 v[48:49], v[42:43], s[16:17]
	s_delay_alu instid0(VALU_DEP_3) | instskip(SKIP_2) | instid1(VALU_DEP_4)
	v_add_f64 v[112:113], v[112:113], v[32:33]
	v_mul_f64 v[32:33], v[120:121], s[36:37]
	v_mul_f64 v[42:43], v[42:43], s[8:9]
	v_fma_f64 v[150:151], v[44:45], s[40:41], v[48:49]
	v_fma_f64 v[48:49], v[44:45], s[2:3], v[48:49]
	s_delay_alu instid0(VALU_DEP_2) | instskip(NEXT) | instid1(VALU_DEP_2)
	v_add_f64 v[118:119], v[150:151], v[118:119]
	v_add_f64 v[114:115], v[48:49], v[50:51]
	v_fma_f64 v[48:49], v[104:105], s[20:21], v[32:33]
	v_mul_f64 v[50:51], v[122:123], s[20:21]
	v_fma_f64 v[32:33], v[104:105], s[20:21], -v[32:33]
	s_delay_alu instid0(VALU_DEP_3) | instskip(NEXT) | instid1(VALU_DEP_3)
	v_add_f64 v[48:49], v[48:49], v[110:111]
	v_fma_f64 v[110:111], v[106:107], s[26:27], v[50:51]
	s_delay_alu instid0(VALU_DEP_3) | instskip(SKIP_1) | instid1(VALU_DEP_3)
	v_add_f64 v[32:33], v[32:33], v[100:101]
	v_fma_f64 v[50:51], v[106:107], s[36:37], v[50:51]
	v_add_f64 v[108:109], v[110:111], v[108:109]
	v_mul_f64 v[110:111], v[144:145], s[12:13]
	s_delay_alu instid0(VALU_DEP_3) | instskip(NEXT) | instid1(VALU_DEP_2)
	v_add_f64 v[50:51], v[50:51], v[102:103]
	v_fma_f64 v[120:121], v[128:129], s[22:23], v[110:111]
	v_fma_f64 v[104:105], v[128:129], s[22:23], -v[110:111]
	s_delay_alu instid0(VALU_DEP_2) | instskip(SKIP_1) | instid1(VALU_DEP_3)
	v_add_f64 v[48:49], v[120:121], v[48:49]
	v_mul_f64 v[120:121], v[146:147], s[22:23]
	v_add_f64 v[32:33], v[104:105], v[32:33]
	s_delay_alu instid0(VALU_DEP_2) | instskip(SKIP_1) | instid1(VALU_DEP_2)
	v_fma_f64 v[122:123], v[130:131], s[38:39], v[120:121]
	v_fma_f64 v[106:107], v[130:131], s[12:13], v[120:121]
	v_add_f64 v[108:109], v[122:123], v[108:109]
	v_mul_f64 v[122:123], v[160:161], s[42:43]
	s_delay_alu instid0(VALU_DEP_3) | instskip(NEXT) | instid1(VALU_DEP_2)
	v_add_f64 v[50:51], v[106:107], v[50:51]
	v_fma_f64 v[132:133], v[152:153], s[18:19], v[122:123]
	v_fma_f64 v[100:101], v[152:153], s[18:19], -v[122:123]
	s_delay_alu instid0(VALU_DEP_2) | instskip(SKIP_1) | instid1(VALU_DEP_3)
	v_add_f64 v[48:49], v[132:133], v[48:49]
	v_mul_f64 v[132:133], v[162:163], s[18:19]
	v_add_f64 v[32:33], v[100:101], v[32:33]
	s_delay_alu instid0(VALU_DEP_2) | instskip(SKIP_1) | instid1(VALU_DEP_2)
	v_fma_f64 v[134:135], v[158:159], s[24:25], v[132:133]
	v_fma_f64 v[102:103], v[158:159], s[42:43], v[132:133]
	v_add_f64 v[108:109], v[134:135], v[108:109]
	v_mul_f64 v[134:135], v[16:17], s[2:3]
	s_delay_alu instid0(VALU_DEP_1) | instskip(SKIP_1) | instid1(VALU_DEP_2)
	v_fma_f64 v[16:17], v[12:13], s[16:17], v[134:135]
	v_fma_f64 v[12:13], v[12:13], s[16:17], -v[134:135]
	v_add_f64 v[16:17], v[16:17], v[48:49]
	v_mul_f64 v[48:49], v[18:19], s[16:17]
	s_delay_alu instid0(VALU_DEP_3) | instskip(SKIP_1) | instid1(VALU_DEP_3)
	v_add_f64 v[12:13], v[12:13], v[32:33]
	v_add_f64 v[32:33], v[96:97], v[52:53]
	v_fma_f64 v[18:19], v[14:15], s[40:41], v[48:49]
	v_fma_f64 v[14:15], v[14:15], s[2:3], v[48:49]
	s_delay_alu instid0(VALU_DEP_3) | instskip(SKIP_3) | instid1(SALU_CYCLE_1)
	v_add_f64 v[32:33], v[32:33], v[56:57]
	v_add_f64 v[48:49], v[102:103], v[50:51]
	s_mul_i32 s2, s5, 0xa90
	s_mul_hi_u32 s3, s4, 0xa90
	s_add_i32 s3, s3, s2
	s_delay_alu instid0(VALU_DEP_4)
	v_add_f64 v[18:19], v[18:19], v[108:109]
	v_fma_f64 v[108:109], v[40:41], s[8:9], v[34:35]
	v_fma_f64 v[34:35], v[40:41], s[8:9], -v[34:35]
	v_add_f64 v[32:33], v[32:33], v[60:61]
	v_fma_f64 v[40:41], v[44:45], s[34:35], v[42:43]
	v_add_f64 v[14:15], v[14:15], v[48:49]
	v_add_f64 v[16:17], v[108:109], v[16:17]
	;; [unrolled: 1-line block ×5, first 2 shown]
	v_fma_f64 v[108:109], v[44:45], s[14:15], v[42:43]
	v_add_f64 v[14:15], v[40:41], v[14:15]
	s_delay_alu instid0(VALU_DEP_4) | instskip(NEXT) | instid1(VALU_DEP_4)
	v_add_f64 v[34:35], v[34:35], v[58:59]
	v_add_f64 v[32:33], v[32:33], v[68:69]
	s_delay_alu instid0(VALU_DEP_4) | instskip(NEXT) | instid1(VALU_DEP_3)
	v_add_f64 v[18:19], v[108:109], v[18:19]
	v_add_f64 v[34:35], v[34:35], v[62:63]
	s_delay_alu instid0(VALU_DEP_3) | instskip(NEXT) | instid1(VALU_DEP_2)
	v_add_f64 v[32:33], v[32:33], v[72:73]
	v_add_f64 v[34:35], v[34:35], v[66:67]
	s_delay_alu instid0(VALU_DEP_2) | instskip(NEXT) | instid1(VALU_DEP_2)
	v_add_f64 v[32:33], v[32:33], v[76:77]
	v_add_f64 v[34:35], v[34:35], v[70:71]
	s_delay_alu instid0(VALU_DEP_2) | instskip(NEXT) | instid1(VALU_DEP_2)
	;; [unrolled: 3-line block ×5, first 2 shown]
	v_add_f64 v[52:53], v[32:33], v[94:95]
	v_add_f64 v[34:35], v[34:35], v[86:87]
	s_delay_alu instid0(VALU_DEP_1) | instskip(NEXT) | instid1(VALU_DEP_1)
	v_add_f64 v[34:35], v[34:35], v[90:91]
	v_add_f64 v[54:55], v[34:35], v[92:93]
	ds_store_b128 v47, v[4:7] offset:5408
	ds_store_b128 v47, v[24:27] offset:8112
	;; [unrolled: 1-line block ×12, first 2 shown]
	ds_store_b128 v47, v[52:55]
	s_waitcnt lgkmcnt(0)
	s_barrier
	buffer_gl0_inv
	ds_load_b128 v[2:5], v47
	ds_load_b128 v[6:9], v47 offset:2704
	scratch_load_b128 v[10:13], off, off offset:152 ; 16-byte Folded Reload
	s_waitcnt vmcnt(0) lgkmcnt(1)
	v_mul_f64 v[0:1], v[12:13], v[4:5]
	s_delay_alu instid0(VALU_DEP_1) | instskip(SKIP_1) | instid1(VALU_DEP_1)
	v_fma_f64 v[0:1], v[10:11], v[2:3], v[0:1]
	v_mul_f64 v[2:3], v[12:13], v[2:3]
	v_fma_f64 v[2:3], v[10:11], v[4:5], -v[2:3]
	scratch_load_b128 v[10:13], off, off offset:168 ; 16-byte Folded Reload
	s_waitcnt vmcnt(0) lgkmcnt(0)
	v_mul_f64 v[4:5], v[12:13], v[8:9]
	s_delay_alu instid0(VALU_DEP_1) | instskip(SKIP_1) | instid1(VALU_DEP_1)
	v_fma_f64 v[4:5], v[10:11], v[6:7], v[4:5]
	v_mul_f64 v[6:7], v[12:13], v[6:7]
	v_fma_f64 v[6:7], v[10:11], v[8:9], -v[6:7]
	ds_load_b128 v[8:11], v47 offset:5408
	ds_load_b128 v[12:15], v47 offset:8112
	s_clause 0x1
	scratch_load_b128 v[18:21], off, off offset:8
	scratch_load_b128 v[22:25], off, off offset:120
	s_waitcnt vmcnt(1) lgkmcnt(1)
	v_mul_f64 v[16:17], v[20:21], v[10:11]
	s_delay_alu instid0(VALU_DEP_1) | instskip(SKIP_1) | instid1(VALU_DEP_1)
	v_fma_f64 v[16:17], v[18:19], v[8:9], v[16:17]
	v_mul_f64 v[8:9], v[20:21], v[8:9]
	v_fma_f64 v[18:19], v[18:19], v[10:11], -v[8:9]
	s_waitcnt vmcnt(0) lgkmcnt(0)
	v_mul_f64 v[8:9], v[24:25], v[14:15]
	s_delay_alu instid0(VALU_DEP_1) | instskip(SKIP_1) | instid1(VALU_DEP_1)
	v_fma_f64 v[20:21], v[22:23], v[12:13], v[8:9]
	v_mul_f64 v[8:9], v[24:25], v[12:13]
	v_fma_f64 v[22:23], v[22:23], v[14:15], -v[8:9]
	ds_load_b128 v[8:11], v47 offset:10816
	ds_load_b128 v[12:15], v47 offset:13520
	s_clause 0x1
	scratch_load_b128 v[26:29], off, off offset:40
	scratch_load_b128 v[30:33], off, off offset:56
	s_waitcnt vmcnt(1) lgkmcnt(1)
	v_mul_f64 v[24:25], v[28:29], v[10:11]
	s_delay_alu instid0(VALU_DEP_1) | instskip(SKIP_1) | instid1(VALU_DEP_1)
	v_fma_f64 v[24:25], v[26:27], v[8:9], v[24:25]
	v_mul_f64 v[8:9], v[28:29], v[8:9]
	v_fma_f64 v[26:27], v[26:27], v[10:11], -v[8:9]
	;; [unrolled: 17-line block ×5, first 2 shown]
	s_waitcnt vmcnt(0) lgkmcnt(0)
	v_mul_f64 v[8:9], v[58:59], v[14:15]
	s_delay_alu instid0(VALU_DEP_1)
	v_fma_f64 v[54:55], v[56:57], v[12:13], v[8:9]
	v_mul_f64 v[8:9], v[58:59], v[12:13]
	scratch_load_b128 v[58:61], off, off offset:200 ; 16-byte Folded Reload
	v_fma_f64 v[56:57], v[56:57], v[14:15], -v[8:9]
	ds_load_b128 v[8:11], v47 offset:32448
	scratch_load_b32 v14, off, off offset:216 ; 4-byte Folded Reload
	s_waitcnt vmcnt(1) lgkmcnt(0)
	v_mul_f64 v[12:13], v[60:61], v[10:11]
	s_delay_alu instid0(VALU_DEP_1) | instskip(SKIP_2) | instid1(VALU_DEP_1)
	v_fma_f64 v[46:47], v[58:59], v[8:9], v[12:13]
	scratch_load_b64 v[12:13], off, off     ; 8-byte Folded Reload
	v_mul_f64 v[8:9], v[60:61], v[8:9]
	v_fma_f64 v[58:59], v[58:59], v[10:11], -v[8:9]
	s_waitcnt vmcnt(0)
	v_mad_u64_u32 v[8:9], null, s6, v12, 0
	s_delay_alu instid0(VALU_DEP_1) | instskip(NEXT) | instid1(VALU_DEP_1)
	v_mad_u64_u32 v[10:11], null, s7, v12, v[9:10]
	v_mov_b32_e32 v9, v10
	v_mad_u64_u32 v[10:11], null, s4, v14, 0
	s_mulk_i32 s4, 0xa90
	s_delay_alu instid0(VALU_DEP_2) | instskip(NEXT) | instid1(VALU_DEP_2)
	v_lshlrev_b64 v[8:9], 4, v[8:9]
	v_mad_u64_u32 v[12:13], null, s5, v14, v[11:12]
	s_delay_alu instid0(VALU_DEP_1) | instskip(NEXT) | instid1(VALU_DEP_3)
	v_mov_b32_e32 v11, v12
	v_add_co_u32 v12, vcc_lo, s0, v8
	s_delay_alu instid0(VALU_DEP_4)
	v_add_co_ci_u32_e32 v13, vcc_lo, s1, v9, vcc_lo
	s_mov_b32 s0, 0xaab49c24
	s_mov_b32 s1, 0x3f3dd46b
	v_lshlrev_b64 v[8:9], 4, v[10:11]
	v_mul_f64 v[0:1], v[0:1], s[0:1]
	v_mul_f64 v[2:3], v[2:3], s[0:1]
	;; [unrolled: 1-line block ×5, first 2 shown]
	v_add_co_u32 v8, vcc_lo, v12, v8
	v_add_co_ci_u32_e32 v9, vcc_lo, v13, v9, vcc_lo
	v_mul_f64 v[12:13], v[36:37], s[0:1]
	global_store_b128 v[8:9], v[0:3], off
	v_mul_f64 v[0:1], v[4:5], s[0:1]
	v_mul_f64 v[2:3], v[6:7], s[0:1]
	v_add_co_u32 v4, vcc_lo, v8, s4
	v_add_co_ci_u32_e32 v5, vcc_lo, s3, v9, vcc_lo
	v_mul_f64 v[6:7], v[26:27], s[0:1]
	s_delay_alu instid0(VALU_DEP_3) | instskip(NEXT) | instid1(VALU_DEP_3)
	v_add_co_u32 v8, vcc_lo, v4, s4
	v_add_co_ci_u32_e32 v9, vcc_lo, s3, v5, vcc_lo
	v_mul_f64 v[26:27], v[52:53], s[0:1]
	global_store_b128 v[4:5], v[0:3], off
	v_mul_f64 v[0:1], v[16:17], s[0:1]
	v_mul_f64 v[2:3], v[18:19], s[0:1]
	;; [unrolled: 1-line block ×6, first 2 shown]
	global_store_b128 v[8:9], v[0:3], off
	v_mul_f64 v[0:1], v[20:21], s[0:1]
	v_mul_f64 v[2:3], v[22:23], s[0:1]
	v_add_co_u32 v8, vcc_lo, v8, s4
	v_add_co_ci_u32_e32 v9, vcc_lo, s3, v9, vcc_lo
	v_mul_f64 v[20:21], v[44:45], s[0:1]
	s_delay_alu instid0(VALU_DEP_3) | instskip(NEXT) | instid1(VALU_DEP_3)
	v_add_co_u32 v60, vcc_lo, v8, s4
	v_add_co_ci_u32_e32 v61, vcc_lo, s3, v9, vcc_lo
	v_mul_f64 v[22:23], v[48:49], s[0:1]
	s_delay_alu instid0(VALU_DEP_3) | instskip(NEXT) | instid1(VALU_DEP_3)
	v_add_co_u32 v62, vcc_lo, v60, s4
	v_add_co_ci_u32_e32 v63, vcc_lo, s3, v61, vcc_lo
	s_delay_alu instid0(VALU_DEP_2) | instskip(NEXT) | instid1(VALU_DEP_2)
	v_add_co_u32 v36, vcc_lo, v62, s4
	v_add_co_ci_u32_e32 v37, vcc_lo, s3, v63, vcc_lo
	s_delay_alu instid0(VALU_DEP_2) | instskip(NEXT) | instid1(VALU_DEP_2)
	v_add_co_u32 v38, vcc_lo, v36, s4
	v_add_co_ci_u32_e32 v39, vcc_lo, s3, v37, vcc_lo
	global_store_b128 v[8:9], v[0:3], off
	v_mul_f64 v[0:1], v[28:29], s[0:1]
	v_mul_f64 v[2:3], v[30:31], s[0:1]
	;; [unrolled: 1-line block ×6, first 2 shown]
	global_store_b128 v[60:61], v[4:7], off
	v_add_co_u32 v4, vcc_lo, v38, s4
	v_add_co_ci_u32_e32 v5, vcc_lo, s3, v39, vcc_lo
	s_delay_alu instid0(VALU_DEP_2) | instskip(NEXT) | instid1(VALU_DEP_2)
	v_add_co_u32 v6, vcc_lo, v4, s4
	v_add_co_ci_u32_e32 v7, vcc_lo, s3, v5, vcc_lo
	s_delay_alu instid0(VALU_DEP_2) | instskip(NEXT) | instid1(VALU_DEP_2)
	v_add_co_u32 v40, vcc_lo, v6, s4
	v_add_co_ci_u32_e32 v41, vcc_lo, s3, v7, vcc_lo
	global_store_b128 v[62:63], v[0:3], off
	v_add_co_u32 v0, vcc_lo, v40, s4
	v_add_co_ci_u32_e32 v1, vcc_lo, s3, v41, vcc_lo
	s_delay_alu instid0(VALU_DEP_2) | instskip(NEXT) | instid1(VALU_DEP_2)
	v_add_co_u32 v2, vcc_lo, v0, s4
	v_add_co_ci_u32_e32 v3, vcc_lo, s3, v1, vcc_lo
	global_store_b128 v[36:37], v[8:11], off
	global_store_b128 v[38:39], v[12:15], off
	;; [unrolled: 1-line block ×7, first 2 shown]
.LBB0_2:
	s_nop 0
	s_sendmsg sendmsg(MSG_DEALLOC_VGPRS)
	s_endpgm
	.section	.rodata,"a",@progbits
	.p2align	6, 0x0
	.amdhsa_kernel bluestein_single_back_len2197_dim1_dp_op_CI_CI
		.amdhsa_group_segment_fixed_size 35152
		.amdhsa_private_segment_fixed_size 248
		.amdhsa_kernarg_size 104
		.amdhsa_user_sgpr_count 15
		.amdhsa_user_sgpr_dispatch_ptr 0
		.amdhsa_user_sgpr_queue_ptr 0
		.amdhsa_user_sgpr_kernarg_segment_ptr 1
		.amdhsa_user_sgpr_dispatch_id 0
		.amdhsa_user_sgpr_private_segment_size 0
		.amdhsa_wavefront_size32 1
		.amdhsa_uses_dynamic_stack 0
		.amdhsa_enable_private_segment 1
		.amdhsa_system_sgpr_workgroup_id_x 1
		.amdhsa_system_sgpr_workgroup_id_y 0
		.amdhsa_system_sgpr_workgroup_id_z 0
		.amdhsa_system_sgpr_workgroup_info 0
		.amdhsa_system_vgpr_workitem_id 0
		.amdhsa_next_free_vgpr 256
		.amdhsa_next_free_sgpr 46
		.amdhsa_reserve_vcc 1
		.amdhsa_float_round_mode_32 0
		.amdhsa_float_round_mode_16_64 0
		.amdhsa_float_denorm_mode_32 3
		.amdhsa_float_denorm_mode_16_64 3
		.amdhsa_dx10_clamp 1
		.amdhsa_ieee_mode 1
		.amdhsa_fp16_overflow 0
		.amdhsa_workgroup_processor_mode 1
		.amdhsa_memory_ordered 1
		.amdhsa_forward_progress 0
		.amdhsa_shared_vgpr_count 0
		.amdhsa_exception_fp_ieee_invalid_op 0
		.amdhsa_exception_fp_denorm_src 0
		.amdhsa_exception_fp_ieee_div_zero 0
		.amdhsa_exception_fp_ieee_overflow 0
		.amdhsa_exception_fp_ieee_underflow 0
		.amdhsa_exception_fp_ieee_inexact 0
		.amdhsa_exception_int_div_zero 0
	.end_amdhsa_kernel
	.text
.Lfunc_end0:
	.size	bluestein_single_back_len2197_dim1_dp_op_CI_CI, .Lfunc_end0-bluestein_single_back_len2197_dim1_dp_op_CI_CI
                                        ; -- End function
	.section	.AMDGPU.csdata,"",@progbits
; Kernel info:
; codeLenInByte = 29608
; NumSgprs: 48
; NumVgprs: 256
; ScratchSize: 248
; MemoryBound: 0
; FloatMode: 240
; IeeeMode: 1
; LDSByteSize: 35152 bytes/workgroup (compile time only)
; SGPRBlocks: 5
; VGPRBlocks: 31
; NumSGPRsForWavesPerEU: 48
; NumVGPRsForWavesPerEU: 256
; Occupancy: 5
; WaveLimiterHint : 1
; COMPUTE_PGM_RSRC2:SCRATCH_EN: 1
; COMPUTE_PGM_RSRC2:USER_SGPR: 15
; COMPUTE_PGM_RSRC2:TRAP_HANDLER: 0
; COMPUTE_PGM_RSRC2:TGID_X_EN: 1
; COMPUTE_PGM_RSRC2:TGID_Y_EN: 0
; COMPUTE_PGM_RSRC2:TGID_Z_EN: 0
; COMPUTE_PGM_RSRC2:TIDIG_COMP_CNT: 0
	.text
	.p2alignl 7, 3214868480
	.fill 96, 4, 3214868480
	.type	__hip_cuid_f9d608241416b148,@object ; @__hip_cuid_f9d608241416b148
	.section	.bss,"aw",@nobits
	.globl	__hip_cuid_f9d608241416b148
__hip_cuid_f9d608241416b148:
	.byte	0                               ; 0x0
	.size	__hip_cuid_f9d608241416b148, 1

	.ident	"AMD clang version 19.0.0git (https://github.com/RadeonOpenCompute/llvm-project roc-6.4.0 25133 c7fe45cf4b819c5991fe208aaa96edf142730f1d)"
	.section	".note.GNU-stack","",@progbits
	.addrsig
	.addrsig_sym __hip_cuid_f9d608241416b148
	.amdgpu_metadata
---
amdhsa.kernels:
  - .args:
      - .actual_access:  read_only
        .address_space:  global
        .offset:         0
        .size:           8
        .value_kind:     global_buffer
      - .actual_access:  read_only
        .address_space:  global
        .offset:         8
        .size:           8
        .value_kind:     global_buffer
      - .actual_access:  read_only
        .address_space:  global
        .offset:         16
        .size:           8
        .value_kind:     global_buffer
      - .actual_access:  read_only
        .address_space:  global
        .offset:         24
        .size:           8
        .value_kind:     global_buffer
      - .actual_access:  read_only
        .address_space:  global
        .offset:         32
        .size:           8
        .value_kind:     global_buffer
      - .offset:         40
        .size:           8
        .value_kind:     by_value
      - .address_space:  global
        .offset:         48
        .size:           8
        .value_kind:     global_buffer
      - .address_space:  global
        .offset:         56
        .size:           8
        .value_kind:     global_buffer
      - .address_space:  global
        .offset:         64
        .size:           8
        .value_kind:     global_buffer
      - .address_space:  global
        .offset:         72
        .size:           8
        .value_kind:     global_buffer
      - .offset:         80
        .size:           4
        .value_kind:     by_value
      - .address_space:  global
        .offset:         88
        .size:           8
        .value_kind:     global_buffer
      - .address_space:  global
        .offset:         96
        .size:           8
        .value_kind:     global_buffer
    .group_segment_fixed_size: 35152
    .kernarg_segment_align: 8
    .kernarg_segment_size: 104
    .language:       OpenCL C
    .language_version:
      - 2
      - 0
    .max_flat_workgroup_size: 169
    .name:           bluestein_single_back_len2197_dim1_dp_op_CI_CI
    .private_segment_fixed_size: 248
    .sgpr_count:     48
    .sgpr_spill_count: 0
    .symbol:         bluestein_single_back_len2197_dim1_dp_op_CI_CI.kd
    .uniform_work_group_size: 1
    .uses_dynamic_stack: false
    .vgpr_count:     256
    .vgpr_spill_count: 61
    .wavefront_size: 32
    .workgroup_processor_mode: 1
amdhsa.target:   amdgcn-amd-amdhsa--gfx1100
amdhsa.version:
  - 1
  - 2
...

	.end_amdgpu_metadata
